;; amdgpu-corpus repo=ROCm/rocSOLVER kind=compiled arch=gfx1250 opt=O3
	.amdgcn_target "amdgcn-amd-amdhsa--gfx1250"
	.amdhsa_code_object_version 6
	.section	.text._ZN9rocsolver6v33100L18getf2_panel_kernelIfiiPfEEvT0_S3_T2_lS3_lPS3_llPT1_S3_S3_S5_l,"axG",@progbits,_ZN9rocsolver6v33100L18getf2_panel_kernelIfiiPfEEvT0_S3_T2_lS3_lPS3_llPT1_S3_S3_S5_l,comdat
	.globl	_ZN9rocsolver6v33100L18getf2_panel_kernelIfiiPfEEvT0_S3_T2_lS3_lPS3_llPT1_S3_S3_S5_l ; -- Begin function _ZN9rocsolver6v33100L18getf2_panel_kernelIfiiPfEEvT0_S3_T2_lS3_lPS3_llPT1_S3_S3_S5_l
	.p2align	8
	.type	_ZN9rocsolver6v33100L18getf2_panel_kernelIfiiPfEEvT0_S3_T2_lS3_lPS3_llPT1_S3_S3_S5_l,@function
_ZN9rocsolver6v33100L18getf2_panel_kernelIfiiPfEEvT0_S3_T2_lS3_lPS3_llPT1_S3_S3_S5_l: ; @_ZN9rocsolver6v33100L18getf2_panel_kernelIfiiPfEEvT0_S3_T2_lS3_lPS3_llPT1_S3_S3_S5_l
; %bb.0:
	s_clause 0x1
	s_load_b128 s[4:7], s[0:1], 0x50
	s_load_b32 s3, s[0:1], 0x6c
	s_bfe_u32 s2, ttmp6, 0x40014
	s_lshr_b32 s8, ttmp7, 16
	s_add_co_i32 s2, s2, 1
	s_bfe_u32 s9, ttmp6, 0x40008
	s_mul_i32 s2, s8, s2
	s_getreg_b32 s10, hwreg(HW_REG_IB_STS2, 6, 4)
	s_add_co_i32 s9, s9, s2
	s_cmp_eq_u32 s10, 0
	s_mov_b32 s13, 0
	s_cselect_b32 s12, s8, s9
	s_mov_b64 s[16:17], 0
	s_wait_kmcnt 0x0
	s_cmp_eq_u64 s[4:5], 0
	s_cselect_b32 s22, -1, 0
	s_delay_alu instid0(SALU_CYCLE_1)
	s_and_b32 vcc_lo, exec_lo, s22
	s_cbranch_vccnz .LBB0_2
; %bb.1:
	s_mul_u64 s[6:7], s[6:7], s[12:13]
	s_delay_alu instid0(SALU_CYCLE_1) | instskip(NEXT) | instid1(SALU_CYCLE_1)
	s_lshl_b64 s[6:7], s[6:7], 2
	s_add_nc_u64 s[16:17], s[4:5], s[6:7]
.LBB0_2:
	s_clause 0x3
	s_load_b256 s[4:11], s[0:1], 0x20
	s_load_b128 s[28:31], s[0:1], 0x8
	s_load_b64 s[18:19], s[0:1], 0x0
	s_load_b64 s[14:15], s[0:1], 0x40
	v_bfe_u32 v4, v0, 10, 10
	s_and_b32 s26, s3, 0xffff
	v_and_b32_e32 v5, 0x3ff, v0
	s_lshl_b32 s25, s26, 2
                                        ; implicit-def: $vgpr6
	s_delay_alu instid0(SALU_CYCLE_1)
	s_add_co_i32 s23, s25, 8
	v_cmp_eq_u32_e64 s2, 0, v4
	s_wait_kmcnt 0x0
	s_mul_u64 s[4:5], s[4:5], s[12:13]
	s_lshl_b64 s[20:21], s[30:31], 2
	s_lshl_b64 s[4:5], s[4:5], 2
	s_lshl_b32 s24, s19, 2
	s_add_nc_u64 s[4:5], s[28:29], s[4:5]
	s_add_co_i32 s24, s23, s24
	s_add_nc_u64 s[20:21], s[4:5], s[20:21]
	s_add_co_i32 s4, s24, s25
	s_and_saveexec_b32 s5, s2
	s_cbranch_execz .LBB0_6
; %bb.3:
	v_mov_b32_e32 v0, 0
	s_mov_b32 s25, exec_lo
	v_cmpx_gt_i32_e64 s18, v5
	s_cbranch_execz .LBB0_5
; %bb.4:
	global_load_b32 v0, v5, s[20:21] scale_offset
.LBB0_5:
	s_wait_xcnt 0x0
	s_or_b32 exec_lo, exec_lo, s25
	v_lshlrev_b32_e32 v1, 2, v5
	s_wait_loadcnt 0x0
	v_and_b32_e32 v6, 0x7fffffff, v0
	s_delay_alu instid0(VALU_DEP_2)
	v_dual_add_nc_u32 v2, 8, v1 :: v_dual_add_nc_u32 v3, s24, v1
	v_add_nc_u32_e32 v1, s4, v1
	ds_store_b32 v2, v0
	ds_store_b32 v3, v6
	;; [unrolled: 1-line block ×3, first 2 shown]
.LBB0_6:
	s_or_b32 exec_lo, exec_lo, s5
	s_load_b32 s25, s[0:1], 0x4c
	s_cmp_lt_i32 s19, 1
	s_cbranch_scc1 .LBB0_48
; %bb.7:
	s_mul_u64 s[28:29], s[10:11], s[12:13]
	s_load_b32 s10, s[0:1], 0x18
	v_dual_lshlrev_b32 v0, 2, v5 :: v_dual_bitop2_b32 v1, v5, v4 bitop3:0x54
	s_wait_xcnt 0x0
	s_lshl_b64 s[0:1], s[28:29], 2
	v_add_nc_u32_e32 v10, 2, v4
	s_add_nc_u64 s[0:1], s[6:7], s[0:1]
	s_lshl_b64 s[6:7], s[8:9], 2
	v_lshlrev_b32_e32 v14, 2, v4
	s_add_nc_u64 s[6:7], s[0:1], s[6:7]
	v_cmp_eq_u32_e64 s0, 0, v1
	v_mov_b32_e32 v1, 0
	v_cmp_gt_u32_e32 vcc_lo, s19, v5
	s_lshr_b32 s11, s3, 16
	s_lshr_b32 s8, s26, 1
	v_dual_add_nc_u32 v7, s24, v0 :: v_dual_add_nc_u32 v8, s4, v0
	v_add_nc_u64_e32 v[2:3], s[16:17], v[0:1]
	v_dual_add_nc_u32 v9, 8, v0 :: v_dual_add_nc_u32 v12, s23, v0
	v_cmp_gt_i32_e64 s1, s18, v5
	s_wait_kmcnt 0x0
	v_mul_lo_u32 v11, s10, v5
	v_mad_u32 v13, s10, v10, v5
	v_cmp_le_i32_e64 s3, s18, v5
	v_add3_u32 v0, s23, v14, 8
	v_mov_b32_e32 v14, s4
	s_cmp_gt_u32 s26, 1
	s_mov_b32 s26, 0
	s_cselect_b32 s9, -1, 0
	s_add_co_i32 s27, s25, 1
	s_and_b32 s28, s2, vcc_lo
	s_add_co_i32 s18, s19, -1
	s_mul_i32 s29, s10, s11
	s_lshl_b32 s30, s11, 2
	s_branch .LBB0_9
.LBB0_8:                                ;   in Loop: Header=BB0_9 Depth=1
	s_or_b32 exec_lo, exec_lo, s4
	v_dual_add_nc_u32 v13, s10, v13 :: v_dual_add_nc_u32 v0, 4, v0
	s_add_co_i32 s26, s26, 1
	s_delay_alu instid0(SALU_CYCLE_1)
	s_cmp_eq_u32 s26, s19
	s_cbranch_scc1 .LBB0_48
.LBB0_9:                                ; =>This Loop Header: Depth=1
                                        ;     Child Loop BB0_16 Depth 2
                                        ;     Child Loop BB0_42 Depth 2
	v_mov_b32_e32 v15, v5
	s_and_not1_b32 vcc_lo, exec_lo, s9
	s_mov_b32 s5, s8
	s_wait_dscnt 0x0
	s_barrier_signal -1
	s_barrier_wait -1
	s_cbranch_vccnz .LBB0_18
; %bb.10:                               ;   in Loop: Header=BB0_9 Depth=1
	v_cmp_gt_u32_e32 vcc_lo, s5, v5
	s_and_b32 s4, s2, vcc_lo
	s_delay_alu instid0(SALU_CYCLE_1)
	s_and_saveexec_b32 s31, s4
	s_cbranch_execz .LBB0_16
.LBB0_11:                               ;   in Loop: Header=BB0_9 Depth=1
	s_lshl_b32 s4, s5, 2
	s_mov_b32 s34, exec_lo
	v_dual_add_nc_u32 v16, s4, v7 :: v_dual_add_nc_u32 v17, s4, v8
	ds_load_b32 v16, v16
	ds_load_b32 v17, v17
	s_wait_dscnt 0x1
	v_cmp_lt_f32_e64 s33, v6, v16
	v_cmpx_nlt_f32_e32 v6, v16
	s_cbranch_execz .LBB0_13
; %bb.12:                               ;   in Loop: Header=BB0_9 Depth=1
	v_cmp_eq_f32_e32 vcc_lo, v6, v16
	s_wait_dscnt 0x0
	v_cmp_gt_i32_e64 s4, v15, v17
	s_and_not1_b32 s33, s33, exec_lo
	s_and_b32 s4, vcc_lo, s4
	s_delay_alu instid0(SALU_CYCLE_1) | instskip(NEXT) | instid1(SALU_CYCLE_1)
	s_and_b32 s4, s4, exec_lo
	s_or_b32 s33, s33, s4
.LBB0_13:                               ;   in Loop: Header=BB0_9 Depth=1
	s_or_b32 exec_lo, exec_lo, s34
	s_and_saveexec_b32 s4, s33
	s_cbranch_execz .LBB0_15
; %bb.14:                               ;   in Loop: Header=BB0_9 Depth=1
	s_wait_dscnt 0x0
	v_dual_mov_b32 v6, v16 :: v_dual_mov_b32 v15, v17
	ds_store_b32 v7, v16
	ds_store_b32 v8, v17
.LBB0_15:                               ;   in Loop: Header=BB0_9 Depth=1
	s_or_b32 exec_lo, exec_lo, s4
.LBB0_16:                               ;   Parent Loop BB0_9 Depth=1
                                        ; =>  This Inner Loop Header: Depth=2
	s_delay_alu instid0(SALU_CYCLE_1)
	s_or_b32 exec_lo, exec_lo, s31
	s_lshr_b32 s4, s5, 1
	s_cmp_lt_u32 s5, 2
	s_wait_dscnt 0x0
	s_barrier_signal -1
	s_barrier_wait -1
	s_cbranch_scc1 .LBB0_18
; %bb.17:                               ;   in Loop: Header=BB0_16 Depth=2
	s_mov_b32 s5, s4
	s_delay_alu instid0(SALU_CYCLE_1) | instskip(SKIP_1) | instid1(SALU_CYCLE_1)
	v_cmp_gt_u32_e32 vcc_lo, s5, v5
	s_and_b32 s4, s2, vcc_lo
	s_and_saveexec_b32 s31, s4
	s_cbranch_execnz .LBB0_11
	s_branch .LBB0_16
.LBB0_18:                               ;   in Loop: Header=BB0_9 Depth=1
	ds_load_b32 v16, v14
	s_wait_dscnt 0x0
	v_lshlrev_b32_e32 v15, 2, v16
	s_delay_alu instid0(VALU_DEP_1)
	v_add_nc_u32_e32 v15, 8, v15
	ds_load_b32 v15, v15
	s_wait_dscnt 0x0
	v_cmp_neq_f32_e32 vcc_lo, 0, v15
	s_cbranch_vccz .LBB0_21
; %bb.19:                               ;   in Loop: Header=BB0_9 Depth=1
	v_div_scale_f32 v17, null, v15, v15, 1.0
	s_delay_alu instid0(VALU_DEP_1)
	v_rcp_f32_e32 v18, v17
	v_nop
	v_xor_b32_e32 v17, 0x80000000, v17
	s_delay_alu instid0(TRANS32_DEP_1) | instid1(VALU_DEP_1)
	v_fma_f32 v19, v17, v18, 1.0
	s_delay_alu instid0(VALU_DEP_1) | instskip(SKIP_1) | instid1(VALU_DEP_1)
	v_fmac_f32_e32 v18, v19, v18
	v_div_scale_f32 v19, vcc_lo, 1.0, v15, 1.0
	v_mul_f32_e32 v20, v19, v18
	s_delay_alu instid0(VALU_DEP_1) | instskip(NEXT) | instid1(VALU_DEP_1)
	v_fma_f32 v21, v17, v20, v19
	v_fmac_f32_e32 v20, v21, v18
	s_delay_alu instid0(VALU_DEP_1) | instskip(NEXT) | instid1(VALU_DEP_1)
	v_fmac_f32_e32 v19, v17, v20
	v_div_fmas_f32 v17, v19, v18, v20
	s_delay_alu instid0(VALU_DEP_1)
	v_div_fixup_f32 v17, v17, v15, 1.0
	s_cbranch_execnz .LBB0_22
.LBB0_20:                               ;   in Loop: Header=BB0_9 Depth=1
	s_add_co_i32 s4, s26, 1
	v_mov_b32_e32 v16, s26
	s_cmp_eq_u32 s13, 0
	s_cselect_b32 s13, s4, s13
	s_and_saveexec_b32 s4, s0
	s_cbranch_execnz .LBB0_23
	s_branch .LBB0_24
.LBB0_21:                               ;   in Loop: Header=BB0_9 Depth=1
                                        ; implicit-def: $vgpr17
	s_branch .LBB0_20
.LBB0_22:                               ;   in Loop: Header=BB0_9 Depth=1
	s_delay_alu instid0(VALU_DEP_1)
	v_mov_b32_e32 v15, v17
	s_and_saveexec_b32 s4, s0
	s_cbranch_execz .LBB0_24
.LBB0_23:                               ;   in Loop: Header=BB0_9 Depth=1
	v_dual_mov_b32 v18, s26 :: v_dual_add_nc_u32 v17, s27, v16
	global_store_b32 v18, v17, s[6:7] scale_offset
.LBB0_24:                               ;   in Loop: Header=BB0_9 Depth=1
	s_wait_xcnt 0x0
	s_or_b32 exec_lo, exec_lo, s4
	s_delay_alu instid0(SALU_CYCLE_1)
	s_mov_b32 s5, exec_lo
	v_cmp_eq_u32_e32 vcc_lo, v5, v16
	v_cmpx_ne_u32_e64 v5, v16
	s_cbranch_execz .LBB0_28
; %bb.25:                               ;   in Loop: Header=BB0_9 Depth=1
	ds_load_b32 v17, v9
	v_cmp_le_u32_e64 s4, s26, v5
	s_and_b32 s4, s2, s4
	s_delay_alu instid0(SALU_CYCLE_1)
	s_and_b32 s31, s1, s4
	s_wait_dscnt 0x0
	v_mul_f32_e32 v15, v15, v17
	s_and_saveexec_b32 s4, s31
	s_cbranch_execz .LBB0_27
; %bb.26:                               ;   in Loop: Header=BB0_9 Depth=1
	v_mad_u32 v17, s26, s10, v5
	global_store_b32 v17, v15, s[20:21] scale_offset
.LBB0_27:                               ;   in Loop: Header=BB0_9 Depth=1
	s_wait_xcnt 0x0
	s_or_b32 exec_lo, exec_lo, s4
.LBB0_28:                               ;   in Loop: Header=BB0_9 Depth=1
	s_delay_alu instid0(SALU_CYCLE_1)
	s_or_b32 exec_lo, exec_lo, s5
	v_add_nc_u32_e32 v17, v16, v11
	s_and_saveexec_b32 s5, s28
	s_cbranch_execz .LBB0_31
; %bb.29:                               ;   in Loop: Header=BB0_9 Depth=1
	global_load_b32 v18, v17, s[20:21] scale_offset
	v_cmp_eq_u32_e64 s4, s26, v5
	s_wait_loadcnt 0x0
	ds_store_b32 v12, v18
	s_wait_xcnt 0x0
	s_and_b32 exec_lo, exec_lo, s4
; %bb.30:                               ;   in Loop: Header=BB0_9 Depth=1
	ds_store_b32 v1, v15
.LBB0_31:                               ;   in Loop: Header=BB0_9 Depth=1
	s_or_b32 exec_lo, exec_lo, s5
	v_cmp_ne_u32_e64 s4, s26, v16
	s_wait_storecnt_dscnt 0x0
	s_barrier_signal -1
	s_barrier_wait -1
	s_and_b32 s4, s28, s4
	s_delay_alu instid0(SALU_CYCLE_1)
	s_and_saveexec_b32 s31, s4
	s_cbranch_execz .LBB0_37
; %bb.32:                               ;   in Loop: Header=BB0_9 Depth=1
	s_mov_b64 s[4:5], src_shared_base
	v_cmp_ne_u32_e64 s4, s26, v5
	v_add_nc_u32_e32 v20, s26, v11
	s_mov_b32 s33, exec_lo
	s_delay_alu instid0(VALU_DEP_1) | instskip(NEXT) | instid1(VALU_DEP_1)
	v_ashrrev_i32_e32 v21, 31, v20
	v_lshl_add_u64 v[18:19], v[20:21], 2, s[20:21]
	s_delay_alu instid0(VALU_DEP_1) | instskip(NEXT) | instid1(VALU_DEP_2)
	v_cndmask_b32_e64 v19, s5, v19, s4
	v_cndmask_b32_e64 v18, 0, v18, s4
	v_cmp_lt_u32_e64 s5, s26, v5
	flat_load_b32 v18, v[18:19]
	s_wait_xcnt 0x0
	ds_load_b32 v19, v12
	ds_load_b32 v21, v1
	s_wait_dscnt 0x0
	v_mul_f32_e32 v21, v21, v19
	s_delay_alu instid0(VALU_DEP_1) | instskip(SKIP_2) | instid1(VALU_DEP_1)
	v_cndmask_b32_e64 v21, 0, v21, s5
	s_add_co_i32 s5, s26, 1
	s_wait_loadcnt 0x0
	v_sub_f32_e32 v18, v18, v21
	s_clause 0x1
	global_store_b32 v17, v18, s[20:21] scale_offset
	global_store_b32 v20, v19, s[20:21] scale_offset
	s_wait_xcnt 0x0
	v_cmpx_eq_u32_e64 s5, v5
	s_cbranch_execz .LBB0_34
; %bb.33:                               ;   in Loop: Header=BB0_9 Depth=1
	v_lshlrev_b32_e32 v17, 2, v16
	v_and_b32_e32 v6, 0x7fffffff, v18
	s_delay_alu instid0(VALU_DEP_2)
	v_dual_add_nc_u32 v19, 8, v17 :: v_dual_add_nc_u32 v17, s24, v17
	ds_store_b32 v19, v18
	ds_store_b32 v17, v6
.LBB0_34:                               ;   in Loop: Header=BB0_9 Depth=1
	s_or_b32 exec_lo, exec_lo, s33
	s_nor_b32 s5, s22, s4
	s_delay_alu instid0(SALU_CYCLE_1)
	s_and_saveexec_b32 s4, s5
	s_cbranch_execz .LBB0_36
; %bb.35:                               ;   in Loop: Header=BB0_9 Depth=1
	s_clause 0x1
	global_load_b32 v17, v16, s[16:17] scale_offset
	global_load_b32 v18, v[2:3], off
	s_wait_loadcnt 0x1
	global_store_b32 v[2:3], v17, off
	s_wait_loadcnt 0x0
	global_store_b32 v16, v18, s[16:17] scale_offset
.LBB0_36:                               ;   in Loop: Header=BB0_9 Depth=1
	s_wait_xcnt 0x0
	s_or_b32 exec_lo, exec_lo, s4
.LBB0_37:                               ;   in Loop: Header=BB0_9 Depth=1
	s_delay_alu instid0(SALU_CYCLE_1) | instskip(SKIP_2) | instid1(SALU_CYCLE_1)
	s_or_b32 exec_lo, exec_lo, s31
	v_cmp_ge_u32_e64 s4, s26, v5
	s_or_b32 s5, s3, s4
	s_nor_b32 s31, s5, vcc_lo
	s_delay_alu instid0(SALU_CYCLE_1)
	s_and_saveexec_b32 s5, s31
	s_cbranch_execnz .LBB0_40
; %bb.38:                               ;   in Loop: Header=BB0_9 Depth=1
	s_or_b32 exec_lo, exec_lo, s5
	s_and_b32 s5, s2, s4
	s_delay_alu instid0(SALU_CYCLE_1)
	s_and_saveexec_b32 s4, s5
	s_cbranch_execnz .LBB0_46
.LBB0_39:                               ;   in Loop: Header=BB0_9 Depth=1
	s_or_b32 exec_lo, exec_lo, s4
	s_and_saveexec_b32 s4, s2
	s_cbranch_execz .LBB0_8
	s_branch .LBB0_47
.LBB0_40:                               ;   in Loop: Header=BB0_9 Depth=1
	v_add_nc_u32_e32 v16, s26, v10
	s_mov_b32 s31, exec_lo
	s_delay_alu instid0(VALU_DEP_1)
	v_cmpx_gt_i32_e64 s19, v16
	s_cbranch_execz .LBB0_43
; %bb.41:                               ;   in Loop: Header=BB0_9 Depth=1
	v_dual_mov_b32 v17, v0 :: v_dual_mov_b32 v18, v13
	s_mov_b32 s33, 0
.LBB0_42:                               ;   Parent Loop BB0_9 Depth=1
                                        ; =>  This Inner Loop Header: Depth=2
	global_load_b32 v19, v18, s[20:21] scale_offset
	ds_load_b32 v20, v17
	v_dual_add_nc_u32 v16, s11, v16 :: v_dual_add_nc_u32 v17, s30, v17
	s_wait_loadcnt_dscnt 0x0
	v_fma_f32 v19, -v15, v20, v19
	global_store_b32 v18, v19, s[20:21] scale_offset
	s_wait_xcnt 0x0
	v_add_nc_u32_e32 v18, s29, v18
	v_cmp_le_i32_e32 vcc_lo, s19, v16
	s_or_b32 s33, vcc_lo, s33
	s_delay_alu instid0(SALU_CYCLE_1)
	s_and_not1_b32 exec_lo, exec_lo, s33
	s_cbranch_execnz .LBB0_42
.LBB0_43:                               ;   in Loop: Header=BB0_9 Depth=1
	s_or_b32 exec_lo, exec_lo, s31
	s_cmp_lt_i32 s26, s18
	s_cselect_b32 s31, -1, 0
	s_delay_alu instid0(SALU_CYCLE_1) | instskip(NEXT) | instid1(SALU_CYCLE_1)
	s_and_b32 s33, s2, s31
	s_and_saveexec_b32 s31, s33
	s_cbranch_execz .LBB0_45
; %bb.44:                               ;   in Loop: Header=BB0_9 Depth=1
	s_add_co_i32 s33, s26, 1
	s_delay_alu instid0(SALU_CYCLE_1) | instskip(SKIP_1) | instid1(SALU_CYCLE_1)
	v_mad_u32 v16, s33, s10, v5
	s_lshl_b32 s33, s26, 2
	s_add_co_i32 s33, s23, s33
	s_delay_alu instid0(SALU_CYCLE_1) | instskip(SKIP_4) | instid1(VALU_DEP_1)
	v_mov_b32_e32 v17, s33
	ds_load_b32 v17, v17 offset:4
	global_load_b32 v6, v16, s[20:21] scale_offset
	s_wait_loadcnt_dscnt 0x0
	v_fma_f32 v15, -v15, v17, v6
	v_and_b32_e32 v6, 0x7fffffff, v15
	global_store_b32 v16, v15, s[20:21] scale_offset
	ds_store_b32 v9, v15
	ds_store_b32 v7, v6
.LBB0_45:                               ;   in Loop: Header=BB0_9 Depth=1
	s_wait_xcnt 0x0
	s_or_b32 exec_lo, exec_lo, s31
	s_delay_alu instid0(SALU_CYCLE_1) | instskip(SKIP_1) | instid1(SALU_CYCLE_1)
	s_or_b32 exec_lo, exec_lo, s5
	s_and_b32 s5, s2, s4
	s_and_saveexec_b32 s4, s5
	s_cbranch_execz .LBB0_39
.LBB0_46:                               ;   in Loop: Header=BB0_9 Depth=1
	v_mov_b32_e32 v6, 0
	ds_store_b32 v9, v1
	ds_store_b32 v7, v1
	s_or_b32 exec_lo, exec_lo, s4
	s_and_saveexec_b32 s4, s2
	s_cbranch_execz .LBB0_8
.LBB0_47:                               ;   in Loop: Header=BB0_9 Depth=1
	ds_store_b32 v8, v5
	s_branch .LBB0_8
.LBB0_48:
	s_wait_xcnt 0x0
	s_mov_b32 s1, 0
	s_mov_b32 s0, exec_lo
	v_cmpx_eq_u32_e32 0, v5
	s_cbranch_execz .LBB0_51
; %bb.49:
	v_mov_b32_e32 v0, s12
	s_cmp_gt_i32 s13, 0
	s_cselect_b32 s0, -1, 0
	global_load_b32 v0, v0, s[14:15] scale_offset
	s_wait_loadcnt 0x0
	v_or_b32_e32 v0, v0, v4
	s_delay_alu instid0(VALU_DEP_1) | instskip(SKIP_1) | instid1(SALU_CYCLE_1)
	v_cmp_eq_u32_e32 vcc_lo, 0, v0
	s_and_b32 s0, vcc_lo, s0
	s_and_b32 exec_lo, exec_lo, s0
	s_cbranch_execz .LBB0_51
; %bb.50:
	s_wait_kmcnt 0x0
	s_add_co_i32 s0, s13, s25
	s_delay_alu instid0(SALU_CYCLE_1) | instskip(SKIP_1) | instid1(SALU_CYCLE_1)
	v_dual_mov_b32 v0, 0 :: v_dual_mov_b32 v1, s0
	s_lshl_b32 s0, s12, 2
	s_add_nc_u64 s[0:1], s[14:15], s[0:1]
	global_store_b32 v0, v1, s[0:1]
.LBB0_51:
	s_endpgm
	.section	.rodata,"a",@progbits
	.p2align	6, 0x0
	.amdhsa_kernel _ZN9rocsolver6v33100L18getf2_panel_kernelIfiiPfEEvT0_S3_T2_lS3_lPS3_llPT1_S3_S3_S5_l
		.amdhsa_group_segment_fixed_size 8
		.amdhsa_private_segment_fixed_size 0
		.amdhsa_kernarg_size 352
		.amdhsa_user_sgpr_count 2
		.amdhsa_user_sgpr_dispatch_ptr 0
		.amdhsa_user_sgpr_queue_ptr 0
		.amdhsa_user_sgpr_kernarg_segment_ptr 1
		.amdhsa_user_sgpr_dispatch_id 0
		.amdhsa_user_sgpr_kernarg_preload_length 0
		.amdhsa_user_sgpr_kernarg_preload_offset 0
		.amdhsa_user_sgpr_private_segment_size 0
		.amdhsa_wavefront_size32 1
		.amdhsa_uses_dynamic_stack 0
		.amdhsa_enable_private_segment 0
		.amdhsa_system_sgpr_workgroup_id_x 1
		.amdhsa_system_sgpr_workgroup_id_y 0
		.amdhsa_system_sgpr_workgroup_id_z 1
		.amdhsa_system_sgpr_workgroup_info 0
		.amdhsa_system_vgpr_workitem_id 1
		.amdhsa_next_free_vgpr 22
		.amdhsa_next_free_sgpr 35
		.amdhsa_named_barrier_count 0
		.amdhsa_reserve_vcc 1
		.amdhsa_float_round_mode_32 0
		.amdhsa_float_round_mode_16_64 0
		.amdhsa_float_denorm_mode_32 3
		.amdhsa_float_denorm_mode_16_64 3
		.amdhsa_fp16_overflow 0
		.amdhsa_memory_ordered 1
		.amdhsa_forward_progress 1
		.amdhsa_inst_pref_size 17
		.amdhsa_round_robin_scheduling 0
		.amdhsa_exception_fp_ieee_invalid_op 0
		.amdhsa_exception_fp_denorm_src 0
		.amdhsa_exception_fp_ieee_div_zero 0
		.amdhsa_exception_fp_ieee_overflow 0
		.amdhsa_exception_fp_ieee_underflow 0
		.amdhsa_exception_fp_ieee_inexact 0
		.amdhsa_exception_int_div_zero 0
	.end_amdhsa_kernel
	.section	.text._ZN9rocsolver6v33100L18getf2_panel_kernelIfiiPfEEvT0_S3_T2_lS3_lPS3_llPT1_S3_S3_S5_l,"axG",@progbits,_ZN9rocsolver6v33100L18getf2_panel_kernelIfiiPfEEvT0_S3_T2_lS3_lPS3_llPT1_S3_S3_S5_l,comdat
.Lfunc_end0:
	.size	_ZN9rocsolver6v33100L18getf2_panel_kernelIfiiPfEEvT0_S3_T2_lS3_lPS3_llPT1_S3_S3_S5_l, .Lfunc_end0-_ZN9rocsolver6v33100L18getf2_panel_kernelIfiiPfEEvT0_S3_T2_lS3_lPS3_llPT1_S3_S3_S5_l
                                        ; -- End function
	.set _ZN9rocsolver6v33100L18getf2_panel_kernelIfiiPfEEvT0_S3_T2_lS3_lPS3_llPT1_S3_S3_S5_l.num_vgpr, 22
	.set _ZN9rocsolver6v33100L18getf2_panel_kernelIfiiPfEEvT0_S3_T2_lS3_lPS3_llPT1_S3_S3_S5_l.num_agpr, 0
	.set _ZN9rocsolver6v33100L18getf2_panel_kernelIfiiPfEEvT0_S3_T2_lS3_lPS3_llPT1_S3_S3_S5_l.numbered_sgpr, 35
	.set _ZN9rocsolver6v33100L18getf2_panel_kernelIfiiPfEEvT0_S3_T2_lS3_lPS3_llPT1_S3_S3_S5_l.num_named_barrier, 0
	.set _ZN9rocsolver6v33100L18getf2_panel_kernelIfiiPfEEvT0_S3_T2_lS3_lPS3_llPT1_S3_S3_S5_l.private_seg_size, 0
	.set _ZN9rocsolver6v33100L18getf2_panel_kernelIfiiPfEEvT0_S3_T2_lS3_lPS3_llPT1_S3_S3_S5_l.uses_vcc, 1
	.set _ZN9rocsolver6v33100L18getf2_panel_kernelIfiiPfEEvT0_S3_T2_lS3_lPS3_llPT1_S3_S3_S5_l.uses_flat_scratch, 0
	.set _ZN9rocsolver6v33100L18getf2_panel_kernelIfiiPfEEvT0_S3_T2_lS3_lPS3_llPT1_S3_S3_S5_l.has_dyn_sized_stack, 0
	.set _ZN9rocsolver6v33100L18getf2_panel_kernelIfiiPfEEvT0_S3_T2_lS3_lPS3_llPT1_S3_S3_S5_l.has_recursion, 0
	.set _ZN9rocsolver6v33100L18getf2_panel_kernelIfiiPfEEvT0_S3_T2_lS3_lPS3_llPT1_S3_S3_S5_l.has_indirect_call, 0
	.section	.AMDGPU.csdata,"",@progbits
; Kernel info:
; codeLenInByte = 2064
; TotalNumSgprs: 37
; NumVgprs: 22
; ScratchSize: 0
; MemoryBound: 0
; FloatMode: 240
; IeeeMode: 1
; LDSByteSize: 8 bytes/workgroup (compile time only)
; SGPRBlocks: 0
; VGPRBlocks: 1
; NumSGPRsForWavesPerEU: 37
; NumVGPRsForWavesPerEU: 22
; NamedBarCnt: 0
; Occupancy: 16
; WaveLimiterHint : 0
; COMPUTE_PGM_RSRC2:SCRATCH_EN: 0
; COMPUTE_PGM_RSRC2:USER_SGPR: 2
; COMPUTE_PGM_RSRC2:TRAP_HANDLER: 0
; COMPUTE_PGM_RSRC2:TGID_X_EN: 1
; COMPUTE_PGM_RSRC2:TGID_Y_EN: 0
; COMPUTE_PGM_RSRC2:TGID_Z_EN: 1
; COMPUTE_PGM_RSRC2:TIDIG_COMP_CNT: 1
	.section	.text._ZN9rocsolver6v33100L23getf2_npvt_panel_kernelIfiiPfEEvT0_S3_T2_lS3_lPT1_S3_S3_,"axG",@progbits,_ZN9rocsolver6v33100L23getf2_npvt_panel_kernelIfiiPfEEvT0_S3_T2_lS3_lPT1_S3_S3_,comdat
	.globl	_ZN9rocsolver6v33100L23getf2_npvt_panel_kernelIfiiPfEEvT0_S3_T2_lS3_lPT1_S3_S3_ ; -- Begin function _ZN9rocsolver6v33100L23getf2_npvt_panel_kernelIfiiPfEEvT0_S3_T2_lS3_lPT1_S3_S3_
	.p2align	8
	.type	_ZN9rocsolver6v33100L23getf2_npvt_panel_kernelIfiiPfEEvT0_S3_T2_lS3_lPT1_S3_S3_,@function
_ZN9rocsolver6v33100L23getf2_npvt_panel_kernelIfiiPfEEvT0_S3_T2_lS3_lPT1_S3_S3_: ; @_ZN9rocsolver6v33100L23getf2_npvt_panel_kernelIfiiPfEEvT0_S3_T2_lS3_lPT1_S3_S3_
; %bb.0:
	s_clause 0x3
	s_load_b128 s[4:7], s[0:1], 0x20
	s_load_b128 s[12:15], s[0:1], 0x8
	s_load_b64 s[10:11], s[0:1], 0x0
	s_load_b32 s3, s[0:1], 0x44
	s_bfe_u32 s2, ttmp6, 0x40014
	s_lshr_b32 s8, ttmp7, 16
	s_add_co_i32 s2, s2, 1
	s_bfe_u32 s16, ttmp6, 0x40008
	s_mul_i32 s2, s8, s2
	s_getreg_b32 s17, hwreg(HW_REG_IB_STS2, 6, 4)
	s_add_co_i32 s16, s16, s2
	s_cmp_eq_u32 s17, 0
	s_mov_b32 s9, 0
	v_bfe_u32 v1, v0, 10, 10
	s_cselect_b32 s8, s8, s16
	v_and_b32_e32 v0, 0x3ff, v0
	s_delay_alu instid0(VALU_DEP_2) | instskip(SKIP_2) | instid1(SALU_CYCLE_1)
	v_cmp_eq_u32_e64 s2, 0, v1
	s_wait_kmcnt 0x0
	s_mul_u64 s[4:5], s[4:5], s[8:9]
	s_lshl_b64 s[4:5], s[4:5], 2
	s_delay_alu instid0(SALU_CYCLE_1) | instskip(SKIP_1) | instid1(SALU_CYCLE_1)
	s_add_nc_u64 s[4:5], s[12:13], s[4:5]
	s_lshl_b64 s[12:13], s[14:15], 2
	s_add_nc_u64 s[4:5], s[4:5], s[12:13]
	s_and_saveexec_b32 s9, s2
	s_cbranch_execz .LBB1_4
; %bb.1:
	v_mov_b32_e32 v2, 0
	s_mov_b32 s12, exec_lo
	v_cmpx_gt_i32_e64 s10, v0
	s_cbranch_execz .LBB1_3
; %bb.2:
	global_load_b32 v2, v0, s[4:5] scale_offset
.LBB1_3:
	s_wait_xcnt 0x0
	s_or_b32 exec_lo, exec_lo, s12
	v_lshl_add_u32 v3, v0, 2, 0
	s_wait_loadcnt 0x0
	ds_store_b32 v3, v2
.LBB1_4:
	s_or_b32 exec_lo, exec_lo, s9
	s_cmp_lt_i32 s11, 1
	s_cbranch_scc1 .LBB1_25
; %bb.5:
	s_load_b32 s12, s[0:1], 0x18
	v_dual_lshlrev_b32 v6, 2, v0 :: v_dual_add_nc_u32 v2, 2, v1
	s_lshr_b32 s13, s3, 16
	s_and_b32 s3, s3, 0xffff
	s_delay_alu instid0(VALU_DEP_1)
	v_dual_lshlrev_b32 v7, 2, v1 :: v_dual_add_nc_u32 v3, 0, v6
	s_lshl_b32 s3, s3, 2
	v_cmp_gt_u32_e32 vcc_lo, s11, v0
	s_add_co_i32 s15, s3, 0
	v_cmp_gt_i32_e64 s3, s10, v0
	v_dual_add_nc_u32 v6, s15, v6 :: v_dual_mov_b32 v8, 0
	v_add3_u32 v7, s15, v7, 8
	s_mov_b32 s14, 0
	s_and_b32 s10, s2, vcc_lo
	s_add_co_i32 s16, s11, -1
	s_lshl_b32 s18, s13, 2
	s_mov_b32 s9, 0
	s_wait_kmcnt 0x0
	v_mul_lo_u32 v4, s12, v0
	v_mad_u32 v5, s12, v2, v0
	s_mul_i32 s17, s12, s13
	s_branch .LBB1_7
.LBB1_6:                                ;   in Loop: Header=BB1_7 Depth=1
	s_or_b32 exec_lo, exec_lo, s19
	v_dual_add_nc_u32 v5, s12, v5 :: v_dual_add_nc_u32 v7, 4, v7
	s_add_co_i32 s14, s14, 1
	s_delay_alu instid0(SALU_CYCLE_1)
	s_cmp_eq_u32 s14, s11
	s_cbranch_scc1 .LBB1_26
.LBB1_7:                                ; =>This Loop Header: Depth=1
                                        ;     Child Loop BB1_15 Depth 2
	s_lshl_b32 s19, s14, 2
	s_wait_dscnt 0x0
	s_add_co_i32 s20, s19, 0
	s_barrier_signal -1
	v_mov_b32_e32 v9, s20
	s_barrier_wait -1
	s_cmp_eq_u32 s9, 0
	s_cselect_b32 s20, -1, 0
	ds_load_b32 v10, v9
                                        ; implicit-def: $vgpr9
	s_wait_dscnt 0x0
	v_cmp_eq_f32_e32 vcc_lo, 0, v10
	s_and_b32 s20, vcc_lo, s20
	s_delay_alu instid0(SALU_CYCLE_1)
	s_and_not1_b32 vcc_lo, exec_lo, s20
	s_mov_b32 s20, -1
	s_cbranch_vccnz .LBB1_20
; %bb.8:                                ;   in Loop: Header=BB1_7 Depth=1
	s_and_not1_b32 vcc_lo, exec_lo, s20
	s_cbranch_vccz .LBB1_21
.LBB1_9:                                ;   in Loop: Header=BB1_7 Depth=1
	s_mov_b32 s20, exec_lo
	v_cmpx_ne_u32_e64 s14, v0
	s_cbranch_execnz .LBB1_22
.LBB1_10:                               ;   in Loop: Header=BB1_7 Depth=1
	s_or_b32 exec_lo, exec_lo, s20
	s_and_saveexec_b32 s20, s10
	s_cbranch_execz .LBB1_12
.LBB1_11:                               ;   in Loop: Header=BB1_7 Depth=1
	v_add_nc_u32_e32 v10, s14, v4
	global_load_b32 v10, v10, s[4:5] scale_offset
	s_wait_loadcnt 0x0
	ds_store_b32 v6, v10
.LBB1_12:                               ;   in Loop: Header=BB1_7 Depth=1
	s_wait_xcnt 0x0
	s_or_b32 exec_lo, exec_lo, s20
	v_cmp_lt_u32_e32 vcc_lo, s14, v0
	s_wait_storecnt_dscnt 0x0
	s_barrier_signal -1
	s_barrier_wait -1
	s_and_b32 s21, s3, vcc_lo
	s_delay_alu instid0(SALU_CYCLE_1)
	s_and_saveexec_b32 s20, s21
	s_cbranch_execz .LBB1_18
; %bb.13:                               ;   in Loop: Header=BB1_7 Depth=1
	v_add_nc_u32_e32 v10, s14, v2
	s_mov_b32 s21, exec_lo
	s_delay_alu instid0(VALU_DEP_1)
	v_cmpx_gt_i32_e64 s11, v10
	s_cbranch_execz .LBB1_16
; %bb.14:                               ;   in Loop: Header=BB1_7 Depth=1
	v_dual_mov_b32 v11, v7 :: v_dual_mov_b32 v12, v5
	s_mov_b32 s22, 0
.LBB1_15:                               ;   Parent Loop BB1_7 Depth=1
                                        ; =>  This Inner Loop Header: Depth=2
	global_load_b32 v13, v12, s[4:5] scale_offset
	ds_load_b32 v14, v11
	v_dual_add_nc_u32 v10, s13, v10 :: v_dual_add_nc_u32 v11, s18, v11
	s_wait_loadcnt_dscnt 0x0
	v_fma_f32 v13, -v9, v14, v13
	global_store_b32 v12, v13, s[4:5] scale_offset
	s_wait_xcnt 0x0
	v_add_nc_u32_e32 v12, s17, v12
	v_cmp_le_i32_e32 vcc_lo, s11, v10
	s_or_b32 s22, vcc_lo, s22
	s_delay_alu instid0(SALU_CYCLE_1)
	s_and_not1_b32 exec_lo, exec_lo, s22
	s_cbranch_execnz .LBB1_15
.LBB1_16:                               ;   in Loop: Header=BB1_7 Depth=1
	s_or_b32 exec_lo, exec_lo, s21
	s_cmp_lt_i32 s14, s16
	s_cselect_b32 s21, -1, 0
	s_delay_alu instid0(SALU_CYCLE_1) | instskip(NEXT) | instid1(SALU_CYCLE_1)
	s_and_b32 s21, s2, s21
	s_and_b32 exec_lo, exec_lo, s21
	s_cbranch_execz .LBB1_18
; %bb.17:                               ;   in Loop: Header=BB1_7 Depth=1
	s_add_co_i32 s21, s14, 1
	s_add_co_i32 s19, s15, s19
	v_mad_u32 v10, s21, s12, v0
	v_mov_b32_e32 v12, s19
	ds_load_b32 v12, v12 offset:4
	global_load_b32 v11, v10, s[4:5] scale_offset
	s_wait_loadcnt_dscnt 0x0
	v_fma_f32 v9, -v9, v12, v11
	global_store_b32 v10, v9, s[4:5] scale_offset
	ds_store_b32 v3, v9
.LBB1_18:                               ;   in Loop: Header=BB1_7 Depth=1
	s_wait_xcnt 0x0
	s_or_b32 exec_lo, exec_lo, s20
	v_cmp_ge_u32_e32 vcc_lo, s14, v0
	s_and_b32 s20, s2, vcc_lo
	s_delay_alu instid0(SALU_CYCLE_1)
	s_and_saveexec_b32 s19, s20
	s_cbranch_execz .LBB1_6
; %bb.19:                               ;   in Loop: Header=BB1_7 Depth=1
	ds_store_b32 v3, v8
	s_branch .LBB1_6
.LBB1_20:                               ;   in Loop: Header=BB1_7 Depth=1
	v_div_scale_f32 v9, null, v10, v10, 1.0
	s_delay_alu instid0(VALU_DEP_1)
	v_rcp_f32_e32 v11, v9
	v_nop
	v_xor_b32_e32 v9, 0x80000000, v9
	s_delay_alu instid0(TRANS32_DEP_1) | instid1(VALU_DEP_1)
	v_fma_f32 v12, v9, v11, 1.0
	s_delay_alu instid0(VALU_DEP_1) | instskip(SKIP_1) | instid1(VALU_DEP_1)
	v_fmac_f32_e32 v11, v12, v11
	v_div_scale_f32 v12, vcc_lo, 1.0, v10, 1.0
	v_mul_f32_e32 v13, v12, v11
	s_delay_alu instid0(VALU_DEP_1) | instskip(NEXT) | instid1(VALU_DEP_1)
	v_fma_f32 v14, v9, v13, v12
	v_fmac_f32_e32 v13, v14, v11
	s_delay_alu instid0(VALU_DEP_1) | instskip(NEXT) | instid1(VALU_DEP_1)
	v_fmac_f32_e32 v12, v9, v13
	v_div_fmas_f32 v9, v12, v11, v13
	s_delay_alu instid0(VALU_DEP_1)
	v_div_fixup_f32 v9, v9, v10, 1.0
	s_cbranch_execnz .LBB1_9
.LBB1_21:                               ;   in Loop: Header=BB1_7 Depth=1
	v_mov_b32_e32 v9, v10
	s_add_co_i32 s9, s14, 1
	s_mov_b32 s20, exec_lo
	v_cmpx_ne_u32_e64 s14, v0
	s_cbranch_execz .LBB1_10
.LBB1_22:                               ;   in Loop: Header=BB1_7 Depth=1
	ds_load_b32 v10, v3
	v_cmp_le_u32_e32 vcc_lo, s14, v0
	s_and_b32 s21, s2, vcc_lo
	s_delay_alu instid0(SALU_CYCLE_1)
	s_and_b32 s22, s3, s21
	s_wait_dscnt 0x0
	v_mul_f32_e32 v9, v9, v10
	s_and_saveexec_b32 s21, s22
	s_cbranch_execz .LBB1_24
; %bb.23:                               ;   in Loop: Header=BB1_7 Depth=1
	v_mad_u32 v10, s14, s12, v0
	global_store_b32 v10, v9, s[4:5] scale_offset
.LBB1_24:                               ;   in Loop: Header=BB1_7 Depth=1
	s_wait_xcnt 0x0
	s_or_b32 exec_lo, exec_lo, s21
	s_delay_alu instid0(SALU_CYCLE_1)
	s_or_b32 exec_lo, exec_lo, s20
	s_and_saveexec_b32 s20, s10
	s_cbranch_execnz .LBB1_11
	s_branch .LBB1_12
.LBB1_25:
	s_mov_b32 s9, 0
.LBB1_26:
	s_mov_b32 s3, 0
	s_mov_b32 s2, exec_lo
	v_cmpx_eq_u32_e32 0, v0
	s_cbranch_execz .LBB1_29
; %bb.27:
	v_mov_b32_e32 v0, s8
	s_cmp_gt_i32 s9, 0
	s_cselect_b32 s2, -1, 0
	global_load_b32 v0, v0, s[6:7] scale_offset
	s_wait_loadcnt 0x0
	v_or_b32_e32 v0, v0, v1
	s_delay_alu instid0(VALU_DEP_1) | instskip(SKIP_1) | instid1(SALU_CYCLE_1)
	v_cmp_eq_u32_e32 vcc_lo, 0, v0
	s_and_b32 s2, vcc_lo, s2
	s_and_b32 exec_lo, exec_lo, s2
	s_cbranch_execz .LBB1_29
; %bb.28:
	s_load_b32 s0, s[0:1], 0x34
	s_lshl_b32 s2, s8, 2
	s_wait_kmcnt 0x0
	s_add_co_i32 s0, s9, s0
	s_delay_alu instid0(SALU_CYCLE_1)
	v_dual_mov_b32 v0, 0 :: v_dual_mov_b32 v1, s0
	s_add_nc_u64 s[0:1], s[6:7], s[2:3]
	global_store_b32 v0, v1, s[0:1]
.LBB1_29:
	s_endpgm
	.section	.rodata,"a",@progbits
	.p2align	6, 0x0
	.amdhsa_kernel _ZN9rocsolver6v33100L23getf2_npvt_panel_kernelIfiiPfEEvT0_S3_T2_lS3_lPT1_S3_S3_
		.amdhsa_group_segment_fixed_size 0
		.amdhsa_private_segment_fixed_size 0
		.amdhsa_kernarg_size 312
		.amdhsa_user_sgpr_count 2
		.amdhsa_user_sgpr_dispatch_ptr 0
		.amdhsa_user_sgpr_queue_ptr 0
		.amdhsa_user_sgpr_kernarg_segment_ptr 1
		.amdhsa_user_sgpr_dispatch_id 0
		.amdhsa_user_sgpr_kernarg_preload_length 0
		.amdhsa_user_sgpr_kernarg_preload_offset 0
		.amdhsa_user_sgpr_private_segment_size 0
		.amdhsa_wavefront_size32 1
		.amdhsa_uses_dynamic_stack 0
		.amdhsa_enable_private_segment 0
		.amdhsa_system_sgpr_workgroup_id_x 1
		.amdhsa_system_sgpr_workgroup_id_y 0
		.amdhsa_system_sgpr_workgroup_id_z 1
		.amdhsa_system_sgpr_workgroup_info 0
		.amdhsa_system_vgpr_workitem_id 1
		.amdhsa_next_free_vgpr 15
		.amdhsa_next_free_sgpr 23
		.amdhsa_named_barrier_count 0
		.amdhsa_reserve_vcc 1
		.amdhsa_float_round_mode_32 0
		.amdhsa_float_round_mode_16_64 0
		.amdhsa_float_denorm_mode_32 3
		.amdhsa_float_denorm_mode_16_64 3
		.amdhsa_fp16_overflow 0
		.amdhsa_memory_ordered 1
		.amdhsa_forward_progress 1
		.amdhsa_inst_pref_size 10
		.amdhsa_round_robin_scheduling 0
		.amdhsa_exception_fp_ieee_invalid_op 0
		.amdhsa_exception_fp_denorm_src 0
		.amdhsa_exception_fp_ieee_div_zero 0
		.amdhsa_exception_fp_ieee_overflow 0
		.amdhsa_exception_fp_ieee_underflow 0
		.amdhsa_exception_fp_ieee_inexact 0
		.amdhsa_exception_int_div_zero 0
	.end_amdhsa_kernel
	.section	.text._ZN9rocsolver6v33100L23getf2_npvt_panel_kernelIfiiPfEEvT0_S3_T2_lS3_lPT1_S3_S3_,"axG",@progbits,_ZN9rocsolver6v33100L23getf2_npvt_panel_kernelIfiiPfEEvT0_S3_T2_lS3_lPT1_S3_S3_,comdat
.Lfunc_end1:
	.size	_ZN9rocsolver6v33100L23getf2_npvt_panel_kernelIfiiPfEEvT0_S3_T2_lS3_lPT1_S3_S3_, .Lfunc_end1-_ZN9rocsolver6v33100L23getf2_npvt_panel_kernelIfiiPfEEvT0_S3_T2_lS3_lPT1_S3_S3_
                                        ; -- End function
	.set _ZN9rocsolver6v33100L23getf2_npvt_panel_kernelIfiiPfEEvT0_S3_T2_lS3_lPT1_S3_S3_.num_vgpr, 15
	.set _ZN9rocsolver6v33100L23getf2_npvt_panel_kernelIfiiPfEEvT0_S3_T2_lS3_lPT1_S3_S3_.num_agpr, 0
	.set _ZN9rocsolver6v33100L23getf2_npvt_panel_kernelIfiiPfEEvT0_S3_T2_lS3_lPT1_S3_S3_.numbered_sgpr, 23
	.set _ZN9rocsolver6v33100L23getf2_npvt_panel_kernelIfiiPfEEvT0_S3_T2_lS3_lPT1_S3_S3_.num_named_barrier, 0
	.set _ZN9rocsolver6v33100L23getf2_npvt_panel_kernelIfiiPfEEvT0_S3_T2_lS3_lPT1_S3_S3_.private_seg_size, 0
	.set _ZN9rocsolver6v33100L23getf2_npvt_panel_kernelIfiiPfEEvT0_S3_T2_lS3_lPT1_S3_S3_.uses_vcc, 1
	.set _ZN9rocsolver6v33100L23getf2_npvt_panel_kernelIfiiPfEEvT0_S3_T2_lS3_lPT1_S3_S3_.uses_flat_scratch, 0
	.set _ZN9rocsolver6v33100L23getf2_npvt_panel_kernelIfiiPfEEvT0_S3_T2_lS3_lPT1_S3_S3_.has_dyn_sized_stack, 0
	.set _ZN9rocsolver6v33100L23getf2_npvt_panel_kernelIfiiPfEEvT0_S3_T2_lS3_lPT1_S3_S3_.has_recursion, 0
	.set _ZN9rocsolver6v33100L23getf2_npvt_panel_kernelIfiiPfEEvT0_S3_T2_lS3_lPT1_S3_S3_.has_indirect_call, 0
	.section	.AMDGPU.csdata,"",@progbits
; Kernel info:
; codeLenInByte = 1164
; TotalNumSgprs: 25
; NumVgprs: 15
; ScratchSize: 0
; MemoryBound: 0
; FloatMode: 240
; IeeeMode: 1
; LDSByteSize: 0 bytes/workgroup (compile time only)
; SGPRBlocks: 0
; VGPRBlocks: 0
; NumSGPRsForWavesPerEU: 25
; NumVGPRsForWavesPerEU: 15
; NamedBarCnt: 0
; Occupancy: 16
; WaveLimiterHint : 0
; COMPUTE_PGM_RSRC2:SCRATCH_EN: 0
; COMPUTE_PGM_RSRC2:USER_SGPR: 2
; COMPUTE_PGM_RSRC2:TRAP_HANDLER: 0
; COMPUTE_PGM_RSRC2:TGID_X_EN: 1
; COMPUTE_PGM_RSRC2:TGID_Y_EN: 0
; COMPUTE_PGM_RSRC2:TGID_Z_EN: 1
; COMPUTE_PGM_RSRC2:TIDIG_COMP_CNT: 1
	.section	.text._ZN9rocsolver6v33100L18getf2_panel_kernelIfiiPKPfEEvT0_S5_T2_lS5_lPS5_llPT1_S5_S5_S7_l,"axG",@progbits,_ZN9rocsolver6v33100L18getf2_panel_kernelIfiiPKPfEEvT0_S5_T2_lS5_lPS5_llPT1_S5_S5_S7_l,comdat
	.globl	_ZN9rocsolver6v33100L18getf2_panel_kernelIfiiPKPfEEvT0_S5_T2_lS5_lPS5_llPT1_S5_S5_S7_l ; -- Begin function _ZN9rocsolver6v33100L18getf2_panel_kernelIfiiPKPfEEvT0_S5_T2_lS5_lPS5_llPT1_S5_S5_S7_l
	.p2align	8
	.type	_ZN9rocsolver6v33100L18getf2_panel_kernelIfiiPKPfEEvT0_S5_T2_lS5_lPS5_llPT1_S5_S5_S7_l,@function
_ZN9rocsolver6v33100L18getf2_panel_kernelIfiiPKPfEEvT0_S5_T2_lS5_lPS5_llPT1_S5_S5_S7_l: ; @_ZN9rocsolver6v33100L18getf2_panel_kernelIfiiPKPfEEvT0_S5_T2_lS5_lPS5_llPT1_S5_S5_S7_l
; %bb.0:
	s_clause 0x1
	s_load_b128 s[4:7], s[0:1], 0x8
	s_load_b128 s[8:11], s[0:1], 0x50
	s_bfe_u32 s2, ttmp6, 0x40014
	s_lshr_b32 s3, ttmp7, 16
	s_add_co_i32 s2, s2, 1
	s_bfe_u32 s12, ttmp6, 0x40008
	s_mul_i32 s2, s3, s2
	s_getreg_b32 s13, hwreg(HW_REG_IB_STS2, 6, 4)
	s_add_co_i32 s12, s12, s2
	s_cmp_eq_u32 s13, 0
	s_mov_b32 s13, 0
	s_cselect_b32 s12, s3, s12
	s_mov_b64 s[14:15], 0
	s_load_b32 s3, s[0:1], 0x6c
	s_wait_kmcnt 0x0
	s_load_b64 s[18:19], s[4:5], s12 offset:0x0 scale_offset
	s_cmp_eq_u64 s[8:9], 0
	s_cselect_b32 s20, -1, 0
	s_delay_alu instid0(SALU_CYCLE_1)
	s_and_b32 vcc_lo, exec_lo, s20
	s_cbranch_vccnz .LBB2_2
; %bb.1:
	s_wait_xcnt 0x0
	s_mul_u64 s[4:5], s[10:11], s[12:13]
	s_delay_alu instid0(SALU_CYCLE_1) | instskip(NEXT) | instid1(SALU_CYCLE_1)
	s_lshl_b64 s[4:5], s[4:5], 2
	s_add_nc_u64 s[14:15], s[8:9], s[4:5]
.LBB2_2:
	s_load_b64 s[16:17], s[0:1], 0x0
	s_and_b32 s24, s3, 0xffff
	v_bfe_u32 v6, v0, 10, 10
	s_lshl_b32 s8, s24, 2
	s_wait_xcnt 0x0
	s_lshl_b64 s[4:5], s[6:7], 2
	s_add_co_i32 s21, s8, 8
	v_and_b32_e32 v7, 0x3ff, v0
	v_cmp_eq_u32_e64 s2, 0, v6
	s_wait_kmcnt 0x0
	s_add_nc_u64 s[18:19], s[18:19], s[4:5]
                                        ; implicit-def: $vgpr8
	s_lshl_b32 s6, s17, 2
	s_delay_alu instid0(SALU_CYCLE_1) | instskip(NEXT) | instid1(SALU_CYCLE_1)
	s_add_co_i32 s22, s21, s6
	s_add_co_i32 s29, s22, s8
	s_and_saveexec_b32 s4, s2
	s_cbranch_execz .LBB2_6
; %bb.3:
	v_mov_b32_e32 v0, 0
	s_mov_b32 s5, exec_lo
	v_cmpx_gt_i32_e64 s16, v7
	s_cbranch_execz .LBB2_5
; %bb.4:
	flat_load_b32 v0, v7, s[18:19] scale_offset
.LBB2_5:
	s_wait_xcnt 0x0
	s_or_b32 exec_lo, exec_lo, s5
	v_lshlrev_b32_e32 v1, 2, v7
	s_wait_loadcnt_dscnt 0x0
	v_and_b32_e32 v8, 0x7fffffff, v0
	s_delay_alu instid0(VALU_DEP_2)
	v_dual_add_nc_u32 v2, 8, v1 :: v_dual_add_nc_u32 v3, s22, v1
	v_add_nc_u32_e32 v1, s29, v1
	ds_store_b32 v2, v0
	ds_store_b32 v3, v8
	;; [unrolled: 1-line block ×3, first 2 shown]
.LBB2_6:
	s_or_b32 exec_lo, exec_lo, s4
	s_clause 0x1
	s_load_b256 s[4:11], s[0:1], 0x28
	s_load_b32 s23, s[0:1], 0x4c
	s_cmp_lt_i32 s17, 1
	s_cbranch_scc1 .LBB2_50
; %bb.7:
	s_wait_kmcnt 0x0
	s_mul_u64 s[26:27], s[8:9], s[12:13]
	s_load_b32 s8, s[0:1], 0x18
	v_dual_lshlrev_b32 v0, 2, v7 :: v_dual_bitop2_b32 v1, v7, v6 bitop3:0x54
	s_wait_xcnt 0x0
	s_lshl_b64 s[0:1], s[26:27], 2
	v_add_nc_u32_e32 v12, 2, v6
	s_add_nc_u64 s[0:1], s[4:5], s[0:1]
	v_add_nc_u32_e32 v11, 8, v0
	s_lshl_b64 s[4:5], s[6:7], 2
	v_add_nc_u32_e32 v14, s21, v0
	s_add_nc_u64 s[6:7], s[0:1], s[4:5]
	v_cmp_eq_u32_e64 s0, 0, v1
	v_dual_mov_b32 v1, 0 :: v_dual_lshlrev_b32 v4, 2, v6
	v_mov_b32_e32 v16, s29
	v_cmp_gt_u32_e32 vcc_lo, s17, v7
	s_lshr_b32 s9, s3, 16
	s_delay_alu instid0(VALU_DEP_3)
	v_add_nc_u64_e32 v[2:3], s[14:15], v[0:1]
	s_lshr_b32 s13, s24, 1
	v_dual_add_nc_u32 v9, s22, v0 :: v_dual_add_nc_u32 v10, s29, v0
	s_wait_kmcnt 0x0
	v_mul_lo_u32 v13, s8, v7
	v_mad_u32 v15, s8, v12, v7
	v_cmp_gt_i32_e64 s1, s16, v7
	v_cmp_le_i32_e64 s3, s16, v7
	v_add3_u32 v0, s21, v4, 8
	s_cmp_gt_u32 s24, 1
	s_mov_b32 s25, 0
	s_cselect_b32 s24, -1, 0
	s_add_co_i32 s26, s23, 1
	s_and_b32 s27, s2, vcc_lo
	s_add_co_i32 s28, s17, -1
	s_mul_i32 s29, s8, s9
	s_lshl_b32 s30, s9, 2
	s_mov_b32 s16, 0
	s_branch .LBB2_9
.LBB2_8:                                ;   in Loop: Header=BB2_9 Depth=1
	s_or_b32 exec_lo, exec_lo, s4
	v_dual_add_nc_u32 v15, s8, v15 :: v_dual_add_nc_u32 v0, 4, v0
	s_add_co_i32 s25, s25, 1
	s_delay_alu instid0(SALU_CYCLE_1)
	s_cmp_eq_u32 s25, s17
	s_cbranch_scc1 .LBB2_51
.LBB2_9:                                ; =>This Loop Header: Depth=1
                                        ;     Child Loop BB2_16 Depth 2
                                        ;     Child Loop BB2_44 Depth 2
	v_mov_b32_e32 v4, v7
	s_and_not1_b32 vcc_lo, exec_lo, s24
	s_mov_b32 s5, s13
	s_wait_dscnt 0x0
	s_barrier_signal -1
	s_barrier_wait -1
	s_cbranch_vccnz .LBB2_18
; %bb.10:                               ;   in Loop: Header=BB2_9 Depth=1
	v_cmp_gt_u32_e32 vcc_lo, s5, v7
	s_and_b32 s4, s2, vcc_lo
	s_delay_alu instid0(SALU_CYCLE_1)
	s_and_saveexec_b32 s31, s4
	s_cbranch_execz .LBB2_16
.LBB2_11:                               ;   in Loop: Header=BB2_9 Depth=1
	s_lshl_b32 s4, s5, 2
	s_mov_b32 s34, exec_lo
	v_dual_add_nc_u32 v5, s4, v9 :: v_dual_add_nc_u32 v17, s4, v10
	ds_load_b32 v5, v5
	ds_load_b32 v17, v17
	s_wait_dscnt 0x1
	v_cmp_lt_f32_e64 s33, v8, v5
	v_cmpx_nlt_f32_e32 v8, v5
	s_cbranch_execz .LBB2_13
; %bb.12:                               ;   in Loop: Header=BB2_9 Depth=1
	v_cmp_eq_f32_e32 vcc_lo, v8, v5
	s_wait_dscnt 0x0
	v_cmp_gt_i32_e64 s4, v4, v17
	s_and_not1_b32 s33, s33, exec_lo
	s_and_b32 s4, vcc_lo, s4
	s_delay_alu instid0(SALU_CYCLE_1) | instskip(NEXT) | instid1(SALU_CYCLE_1)
	s_and_b32 s4, s4, exec_lo
	s_or_b32 s33, s33, s4
.LBB2_13:                               ;   in Loop: Header=BB2_9 Depth=1
	s_or_b32 exec_lo, exec_lo, s34
	s_and_saveexec_b32 s4, s33
	s_cbranch_execz .LBB2_15
; %bb.14:                               ;   in Loop: Header=BB2_9 Depth=1
	s_wait_dscnt 0x0
	v_dual_mov_b32 v8, v5 :: v_dual_mov_b32 v4, v17
	ds_store_b32 v9, v5
	ds_store_b32 v10, v17
.LBB2_15:                               ;   in Loop: Header=BB2_9 Depth=1
	s_or_b32 exec_lo, exec_lo, s4
.LBB2_16:                               ;   Parent Loop BB2_9 Depth=1
                                        ; =>  This Inner Loop Header: Depth=2
	s_delay_alu instid0(SALU_CYCLE_1)
	s_or_b32 exec_lo, exec_lo, s31
	s_lshr_b32 s4, s5, 1
	s_cmp_lt_u32 s5, 2
	s_wait_dscnt 0x0
	s_barrier_signal -1
	s_barrier_wait -1
	s_cbranch_scc1 .LBB2_18
; %bb.17:                               ;   in Loop: Header=BB2_16 Depth=2
	s_mov_b32 s5, s4
	s_delay_alu instid0(SALU_CYCLE_1) | instskip(SKIP_1) | instid1(SALU_CYCLE_1)
	v_cmp_gt_u32_e32 vcc_lo, s5, v7
	s_and_b32 s4, s2, vcc_lo
	s_and_saveexec_b32 s31, s4
	s_cbranch_execnz .LBB2_11
	s_branch .LBB2_16
.LBB2_18:                               ;   in Loop: Header=BB2_9 Depth=1
	ds_load_b32 v18, v16
	s_wait_dscnt 0x0
	v_lshlrev_b32_e32 v4, 2, v18
	s_delay_alu instid0(VALU_DEP_1)
	v_add_nc_u32_e32 v4, 8, v4
	ds_load_b32 v17, v4
	s_wait_dscnt 0x0
	v_cmp_neq_f32_e32 vcc_lo, 0, v17
	s_cbranch_vccz .LBB2_21
; %bb.19:                               ;   in Loop: Header=BB2_9 Depth=1
	v_div_scale_f32 v4, null, v17, v17, 1.0
	s_delay_alu instid0(VALU_DEP_1)
	v_rcp_f32_e32 v5, v4
	v_nop
	v_xor_b32_e32 v4, 0x80000000, v4
	s_delay_alu instid0(TRANS32_DEP_1) | instid1(VALU_DEP_1)
	v_fma_f32 v19, v4, v5, 1.0
	s_delay_alu instid0(VALU_DEP_1) | instskip(SKIP_1) | instid1(VALU_DEP_1)
	v_fmac_f32_e32 v5, v19, v5
	v_div_scale_f32 v19, vcc_lo, 1.0, v17, 1.0
	v_mul_f32_e32 v20, v19, v5
	s_delay_alu instid0(VALU_DEP_1) | instskip(NEXT) | instid1(VALU_DEP_1)
	v_fma_f32 v21, v4, v20, v19
	v_fmac_f32_e32 v20, v21, v5
	s_delay_alu instid0(VALU_DEP_1) | instskip(NEXT) | instid1(VALU_DEP_1)
	v_fmac_f32_e32 v19, v4, v20
	v_div_fmas_f32 v4, v19, v5, v20
	s_delay_alu instid0(VALU_DEP_1)
	v_div_fixup_f32 v4, v4, v17, 1.0
	s_cbranch_execnz .LBB2_22
.LBB2_20:                               ;   in Loop: Header=BB2_9 Depth=1
	s_add_co_i32 s4, s25, 1
	v_mov_b32_e32 v18, s25
	s_cmp_eq_u32 s16, 0
	s_cselect_b32 s16, s4, s16
	s_and_saveexec_b32 s4, s0
	s_cbranch_execnz .LBB2_23
	s_branch .LBB2_24
.LBB2_21:                               ;   in Loop: Header=BB2_9 Depth=1
                                        ; implicit-def: $vgpr4
	s_branch .LBB2_20
.LBB2_22:                               ;   in Loop: Header=BB2_9 Depth=1
	s_delay_alu instid0(VALU_DEP_1)
	v_mov_b32_e32 v17, v4
	s_and_saveexec_b32 s4, s0
	s_cbranch_execz .LBB2_24
.LBB2_23:                               ;   in Loop: Header=BB2_9 Depth=1
	v_dual_mov_b32 v5, s25 :: v_dual_add_nc_u32 v4, s26, v18
	global_store_b32 v5, v4, s[6:7] scale_offset
.LBB2_24:                               ;   in Loop: Header=BB2_9 Depth=1
	s_wait_xcnt 0x0
	s_or_b32 exec_lo, exec_lo, s4
	s_delay_alu instid0(SALU_CYCLE_1)
	s_mov_b32 s5, exec_lo
	v_cmp_eq_u32_e32 vcc_lo, v7, v18
	v_cmpx_ne_u32_e64 v7, v18
	s_cbranch_execz .LBB2_28
; %bb.25:                               ;   in Loop: Header=BB2_9 Depth=1
	ds_load_b32 v4, v11
	v_cmp_le_u32_e64 s4, s25, v7
	s_and_b32 s4, s2, s4
	s_delay_alu instid0(SALU_CYCLE_1)
	s_and_b32 s31, s1, s4
	s_wait_dscnt 0x0
	v_mul_f32_e32 v17, v17, v4
	s_and_saveexec_b32 s4, s31
	s_cbranch_execz .LBB2_27
; %bb.26:                               ;   in Loop: Header=BB2_9 Depth=1
	v_mad_u32 v4, s25, s8, v7
	flat_store_b32 v4, v17, s[18:19] scale_offset
.LBB2_27:                               ;   in Loop: Header=BB2_9 Depth=1
	s_wait_xcnt 0x0
	s_or_b32 exec_lo, exec_lo, s4
.LBB2_28:                               ;   in Loop: Header=BB2_9 Depth=1
	s_delay_alu instid0(SALU_CYCLE_1)
	s_or_b32 exec_lo, exec_lo, s5
	v_add_nc_u32_e32 v19, v18, v13
	s_and_saveexec_b32 s5, s27
	s_cbranch_execz .LBB2_31
; %bb.29:                               ;   in Loop: Header=BB2_9 Depth=1
	flat_load_b32 v4, v19, s[18:19] scale_offset
	v_cmp_eq_u32_e64 s4, s25, v7
	s_wait_loadcnt_dscnt 0x0
	ds_store_b32 v14, v4
	s_wait_xcnt 0x0
	s_and_b32 exec_lo, exec_lo, s4
; %bb.30:                               ;   in Loop: Header=BB2_9 Depth=1
	ds_store_b32 v1, v17
.LBB2_31:                               ;   in Loop: Header=BB2_9 Depth=1
	s_or_b32 exec_lo, exec_lo, s5
	v_cmp_ne_u32_e64 s4, s25, v18
	s_wait_storecnt_dscnt 0x0
	s_barrier_signal -1
	s_barrier_wait -1
	s_and_b32 s4, s27, s4
	s_delay_alu instid0(SALU_CYCLE_1)
	s_and_saveexec_b32 s31, s4
	s_cbranch_execz .LBB2_39
; %bb.32:                               ;   in Loop: Header=BB2_9 Depth=1
	v_add_nc_u32_e32 v4, s25, v13
	s_mov_b64 s[4:5], src_shared_base
	v_cmp_ne_u32_e64 s4, s25, v7
	s_mov_b32 s33, exec_lo
	v_ashrrev_i32_e32 v5, 31, v4
	s_delay_alu instid0(VALU_DEP_1) | instskip(NEXT) | instid1(VALU_DEP_1)
	v_lshl_add_u64 v[4:5], v[4:5], 2, s[18:19]
	v_cndmask_b32_e64 v21, s5, v5, s4
	s_delay_alu instid0(VALU_DEP_2)
	v_cndmask_b32_e64 v20, 0, v4, s4
	flat_load_b32 v20, v[20:21]
	s_wait_xcnt 0x0
	v_mov_b32_e32 v21, 0
	v_cmpx_lt_u32_e64 s25, v7
	s_cbranch_execz .LBB2_34
; %bb.33:                               ;   in Loop: Header=BB2_9 Depth=1
	ds_load_b32 v21, v1
	ds_load_b32 v22, v14
	s_wait_dscnt 0x0
	v_mul_f32_e32 v21, v21, v22
.LBB2_34:                               ;   in Loop: Header=BB2_9 Depth=1
	s_or_b32 exec_lo, exec_lo, s33
	s_wait_loadcnt_dscnt 0x0
	s_delay_alu instid0(VALU_DEP_1)
	v_sub_f32_e32 v20, v20, v21
	s_add_co_i32 s5, s25, 1
	s_mov_b32 s33, exec_lo
	flat_store_b32 v19, v20, s[18:19] scale_offset
	s_wait_xcnt 0x0
	ds_load_b32 v19, v14
	s_wait_dscnt 0x0
	flat_store_b32 v[4:5], v19
	s_wait_xcnt 0x0
	v_cmpx_eq_u32_e64 s5, v7
	s_cbranch_execz .LBB2_36
; %bb.35:                               ;   in Loop: Header=BB2_9 Depth=1
	v_lshlrev_b32_e32 v4, 2, v18
	v_and_b32_e32 v8, 0x7fffffff, v20
	s_delay_alu instid0(VALU_DEP_2)
	v_dual_add_nc_u32 v5, 8, v4 :: v_dual_add_nc_u32 v4, s22, v4
	ds_store_b32 v5, v20
	ds_store_b32 v4, v8
.LBB2_36:                               ;   in Loop: Header=BB2_9 Depth=1
	s_or_b32 exec_lo, exec_lo, s33
	s_nor_b32 s5, s20, s4
	s_delay_alu instid0(SALU_CYCLE_1)
	s_and_saveexec_b32 s4, s5
	s_cbranch_execz .LBB2_38
; %bb.37:                               ;   in Loop: Header=BB2_9 Depth=1
	s_clause 0x1
	global_load_b32 v4, v18, s[14:15] scale_offset
	global_load_b32 v5, v[2:3], off
	s_wait_loadcnt 0x1
	global_store_b32 v[2:3], v4, off
	s_wait_loadcnt 0x0
	global_store_b32 v18, v5, s[14:15] scale_offset
.LBB2_38:                               ;   in Loop: Header=BB2_9 Depth=1
	s_wait_xcnt 0x0
	s_or_b32 exec_lo, exec_lo, s4
.LBB2_39:                               ;   in Loop: Header=BB2_9 Depth=1
	s_delay_alu instid0(SALU_CYCLE_1) | instskip(SKIP_2) | instid1(SALU_CYCLE_1)
	s_or_b32 exec_lo, exec_lo, s31
	v_cmp_ge_u32_e64 s4, s25, v7
	s_or_b32 s5, s3, s4
	s_nor_b32 s31, s5, vcc_lo
	s_delay_alu instid0(SALU_CYCLE_1)
	s_and_saveexec_b32 s5, s31
	s_cbranch_execnz .LBB2_42
; %bb.40:                               ;   in Loop: Header=BB2_9 Depth=1
	s_or_b32 exec_lo, exec_lo, s5
	s_and_b32 s5, s2, s4
	s_delay_alu instid0(SALU_CYCLE_1)
	s_and_saveexec_b32 s4, s5
	s_cbranch_execnz .LBB2_48
.LBB2_41:                               ;   in Loop: Header=BB2_9 Depth=1
	s_or_b32 exec_lo, exec_lo, s4
	s_and_saveexec_b32 s4, s2
	s_cbranch_execz .LBB2_8
	s_branch .LBB2_49
.LBB2_42:                               ;   in Loop: Header=BB2_9 Depth=1
	v_add_nc_u32_e32 v4, s25, v12
	s_mov_b32 s31, exec_lo
	s_delay_alu instid0(VALU_DEP_1)
	v_cmpx_gt_i32_e64 s17, v4
	s_cbranch_execz .LBB2_45
; %bb.43:                               ;   in Loop: Header=BB2_9 Depth=1
	v_dual_mov_b32 v5, v0 :: v_dual_mov_b32 v18, v15
	s_mov_b32 s33, 0
.LBB2_44:                               ;   Parent Loop BB2_9 Depth=1
                                        ; =>  This Inner Loop Header: Depth=2
	flat_load_b32 v19, v18, s[18:19] scale_offset
	ds_load_b32 v20, v5
	v_dual_add_nc_u32 v4, s9, v4 :: v_dual_add_nc_u32 v5, s30, v5
	s_wait_loadcnt_dscnt 0x0
	v_fma_f32 v19, -v17, v20, v19
	flat_store_b32 v18, v19, s[18:19] scale_offset
	s_wait_xcnt 0x0
	v_add_nc_u32_e32 v18, s29, v18
	v_cmp_le_i32_e32 vcc_lo, s17, v4
	s_or_b32 s33, vcc_lo, s33
	s_delay_alu instid0(SALU_CYCLE_1)
	s_and_not1_b32 exec_lo, exec_lo, s33
	s_cbranch_execnz .LBB2_44
.LBB2_45:                               ;   in Loop: Header=BB2_9 Depth=1
	s_or_b32 exec_lo, exec_lo, s31
	s_cmp_lt_i32 s25, s28
	s_cselect_b32 s31, -1, 0
	s_delay_alu instid0(SALU_CYCLE_1) | instskip(NEXT) | instid1(SALU_CYCLE_1)
	s_and_b32 s33, s2, s31
	s_and_saveexec_b32 s31, s33
	s_cbranch_execz .LBB2_47
; %bb.46:                               ;   in Loop: Header=BB2_9 Depth=1
	s_add_co_i32 s33, s25, 1
	s_delay_alu instid0(SALU_CYCLE_1) | instskip(SKIP_1) | instid1(SALU_CYCLE_1)
	v_mad_u32 v4, s33, s8, v7
	s_lshl_b32 s33, s25, 2
	s_add_co_i32 s33, s21, s33
	s_delay_alu instid0(SALU_CYCLE_1) | instskip(SKIP_4) | instid1(VALU_DEP_1)
	v_mov_b32_e32 v8, s33
	ds_load_b32 v8, v8 offset:4
	flat_load_b32 v5, v4, s[18:19] scale_offset
	s_wait_loadcnt_dscnt 0x0
	v_fma_f32 v5, -v17, v8, v5
	v_and_b32_e32 v8, 0x7fffffff, v5
	flat_store_b32 v4, v5, s[18:19] scale_offset
	ds_store_b32 v11, v5
	ds_store_b32 v9, v8
.LBB2_47:                               ;   in Loop: Header=BB2_9 Depth=1
	s_wait_xcnt 0x0
	s_or_b32 exec_lo, exec_lo, s31
	s_delay_alu instid0(SALU_CYCLE_1) | instskip(SKIP_1) | instid1(SALU_CYCLE_1)
	s_or_b32 exec_lo, exec_lo, s5
	s_and_b32 s5, s2, s4
	s_and_saveexec_b32 s4, s5
	s_cbranch_execz .LBB2_41
.LBB2_48:                               ;   in Loop: Header=BB2_9 Depth=1
	v_mov_b32_e32 v8, 0
	ds_store_b32 v11, v1
	ds_store_b32 v9, v1
	s_or_b32 exec_lo, exec_lo, s4
	s_and_saveexec_b32 s4, s2
	s_cbranch_execz .LBB2_8
.LBB2_49:                               ;   in Loop: Header=BB2_9 Depth=1
	ds_store_b32 v10, v7
	s_branch .LBB2_8
.LBB2_50:
	s_mov_b32 s16, 0
.LBB2_51:
	s_wait_xcnt 0x0
	s_mov_b32 s1, 0
	s_mov_b32 s0, exec_lo
	v_cmpx_eq_u32_e32 0, v7
	s_cbranch_execz .LBB2_54
; %bb.52:
	v_mov_b32_e32 v0, s12
	s_cmp_gt_i32 s16, 0
	s_cselect_b32 s0, -1, 0
	s_wait_kmcnt 0x0
	global_load_b32 v0, v0, s[10:11] scale_offset
	s_wait_loadcnt 0x0
	v_or_b32_e32 v0, v0, v6
	s_delay_alu instid0(VALU_DEP_1) | instskip(SKIP_1) | instid1(SALU_CYCLE_1)
	v_cmp_eq_u32_e32 vcc_lo, 0, v0
	s_and_b32 s0, vcc_lo, s0
	s_and_b32 exec_lo, exec_lo, s0
	s_cbranch_execz .LBB2_54
; %bb.53:
	s_add_co_i32 s0, s16, s23
	s_delay_alu instid0(SALU_CYCLE_1) | instskip(SKIP_1) | instid1(SALU_CYCLE_1)
	v_dual_mov_b32 v0, 0 :: v_dual_mov_b32 v1, s0
	s_lshl_b32 s0, s12, 2
	s_add_nc_u64 s[0:1], s[10:11], s[0:1]
	global_store_b32 v0, v1, s[0:1]
.LBB2_54:
	s_endpgm
	.section	.rodata,"a",@progbits
	.p2align	6, 0x0
	.amdhsa_kernel _ZN9rocsolver6v33100L18getf2_panel_kernelIfiiPKPfEEvT0_S5_T2_lS5_lPS5_llPT1_S5_S5_S7_l
		.amdhsa_group_segment_fixed_size 8
		.amdhsa_private_segment_fixed_size 0
		.amdhsa_kernarg_size 352
		.amdhsa_user_sgpr_count 2
		.amdhsa_user_sgpr_dispatch_ptr 0
		.amdhsa_user_sgpr_queue_ptr 0
		.amdhsa_user_sgpr_kernarg_segment_ptr 1
		.amdhsa_user_sgpr_dispatch_id 0
		.amdhsa_user_sgpr_kernarg_preload_length 0
		.amdhsa_user_sgpr_kernarg_preload_offset 0
		.amdhsa_user_sgpr_private_segment_size 0
		.amdhsa_wavefront_size32 1
		.amdhsa_uses_dynamic_stack 0
		.amdhsa_enable_private_segment 0
		.amdhsa_system_sgpr_workgroup_id_x 1
		.amdhsa_system_sgpr_workgroup_id_y 0
		.amdhsa_system_sgpr_workgroup_id_z 1
		.amdhsa_system_sgpr_workgroup_info 0
		.amdhsa_system_vgpr_workitem_id 1
		.amdhsa_next_free_vgpr 23
		.amdhsa_next_free_sgpr 35
		.amdhsa_named_barrier_count 0
		.amdhsa_reserve_vcc 1
		.amdhsa_float_round_mode_32 0
		.amdhsa_float_round_mode_16_64 0
		.amdhsa_float_denorm_mode_32 3
		.amdhsa_float_denorm_mode_16_64 3
		.amdhsa_fp16_overflow 0
		.amdhsa_memory_ordered 1
		.amdhsa_forward_progress 1
		.amdhsa_inst_pref_size 17
		.amdhsa_round_robin_scheduling 0
		.amdhsa_exception_fp_ieee_invalid_op 0
		.amdhsa_exception_fp_denorm_src 0
		.amdhsa_exception_fp_ieee_div_zero 0
		.amdhsa_exception_fp_ieee_overflow 0
		.amdhsa_exception_fp_ieee_underflow 0
		.amdhsa_exception_fp_ieee_inexact 0
		.amdhsa_exception_int_div_zero 0
	.end_amdhsa_kernel
	.section	.text._ZN9rocsolver6v33100L18getf2_panel_kernelIfiiPKPfEEvT0_S5_T2_lS5_lPS5_llPT1_S5_S5_S7_l,"axG",@progbits,_ZN9rocsolver6v33100L18getf2_panel_kernelIfiiPKPfEEvT0_S5_T2_lS5_lPS5_llPT1_S5_S5_S7_l,comdat
.Lfunc_end2:
	.size	_ZN9rocsolver6v33100L18getf2_panel_kernelIfiiPKPfEEvT0_S5_T2_lS5_lPS5_llPT1_S5_S5_S7_l, .Lfunc_end2-_ZN9rocsolver6v33100L18getf2_panel_kernelIfiiPKPfEEvT0_S5_T2_lS5_lPS5_llPT1_S5_S5_S7_l
                                        ; -- End function
	.set _ZN9rocsolver6v33100L18getf2_panel_kernelIfiiPKPfEEvT0_S5_T2_lS5_lPS5_llPT1_S5_S5_S7_l.num_vgpr, 23
	.set _ZN9rocsolver6v33100L18getf2_panel_kernelIfiiPKPfEEvT0_S5_T2_lS5_lPS5_llPT1_S5_S5_S7_l.num_agpr, 0
	.set _ZN9rocsolver6v33100L18getf2_panel_kernelIfiiPKPfEEvT0_S5_T2_lS5_lPS5_llPT1_S5_S5_S7_l.numbered_sgpr, 35
	.set _ZN9rocsolver6v33100L18getf2_panel_kernelIfiiPKPfEEvT0_S5_T2_lS5_lPS5_llPT1_S5_S5_S7_l.num_named_barrier, 0
	.set _ZN9rocsolver6v33100L18getf2_panel_kernelIfiiPKPfEEvT0_S5_T2_lS5_lPS5_llPT1_S5_S5_S7_l.private_seg_size, 0
	.set _ZN9rocsolver6v33100L18getf2_panel_kernelIfiiPKPfEEvT0_S5_T2_lS5_lPS5_llPT1_S5_S5_S7_l.uses_vcc, 1
	.set _ZN9rocsolver6v33100L18getf2_panel_kernelIfiiPKPfEEvT0_S5_T2_lS5_lPS5_llPT1_S5_S5_S7_l.uses_flat_scratch, 0
	.set _ZN9rocsolver6v33100L18getf2_panel_kernelIfiiPKPfEEvT0_S5_T2_lS5_lPS5_llPT1_S5_S5_S7_l.has_dyn_sized_stack, 0
	.set _ZN9rocsolver6v33100L18getf2_panel_kernelIfiiPKPfEEvT0_S5_T2_lS5_lPS5_llPT1_S5_S5_S7_l.has_recursion, 0
	.set _ZN9rocsolver6v33100L18getf2_panel_kernelIfiiPKPfEEvT0_S5_T2_lS5_lPS5_llPT1_S5_S5_S7_l.has_indirect_call, 0
	.section	.AMDGPU.csdata,"",@progbits
; Kernel info:
; codeLenInByte = 2096
; TotalNumSgprs: 37
; NumVgprs: 23
; ScratchSize: 0
; MemoryBound: 0
; FloatMode: 240
; IeeeMode: 1
; LDSByteSize: 8 bytes/workgroup (compile time only)
; SGPRBlocks: 0
; VGPRBlocks: 1
; NumSGPRsForWavesPerEU: 37
; NumVGPRsForWavesPerEU: 23
; NamedBarCnt: 0
; Occupancy: 16
; WaveLimiterHint : 1
; COMPUTE_PGM_RSRC2:SCRATCH_EN: 0
; COMPUTE_PGM_RSRC2:USER_SGPR: 2
; COMPUTE_PGM_RSRC2:TRAP_HANDLER: 0
; COMPUTE_PGM_RSRC2:TGID_X_EN: 1
; COMPUTE_PGM_RSRC2:TGID_Y_EN: 0
; COMPUTE_PGM_RSRC2:TGID_Z_EN: 1
; COMPUTE_PGM_RSRC2:TIDIG_COMP_CNT: 1
	.section	.text._ZN9rocsolver6v33100L23getf2_npvt_panel_kernelIfiiPKPfEEvT0_S5_T2_lS5_lPT1_S5_S5_,"axG",@progbits,_ZN9rocsolver6v33100L23getf2_npvt_panel_kernelIfiiPKPfEEvT0_S5_T2_lS5_lPT1_S5_S5_,comdat
	.globl	_ZN9rocsolver6v33100L23getf2_npvt_panel_kernelIfiiPKPfEEvT0_S5_T2_lS5_lPT1_S5_S5_ ; -- Begin function _ZN9rocsolver6v33100L23getf2_npvt_panel_kernelIfiiPKPfEEvT0_S5_T2_lS5_lPT1_S5_S5_
	.p2align	8
	.type	_ZN9rocsolver6v33100L23getf2_npvt_panel_kernelIfiiPKPfEEvT0_S5_T2_lS5_lPT1_S5_S5_,@function
_ZN9rocsolver6v33100L23getf2_npvt_panel_kernelIfiiPKPfEEvT0_S5_T2_lS5_lPT1_S5_S5_: ; @_ZN9rocsolver6v33100L23getf2_npvt_panel_kernelIfiiPKPfEEvT0_S5_T2_lS5_lPT1_S5_S5_
; %bb.0:
	s_load_b128 s[12:15], s[0:1], 0x8
	s_bfe_u32 s2, ttmp6, 0x40014
	s_lshr_b32 s3, ttmp7, 16
	s_add_co_i32 s2, s2, 1
	s_bfe_u32 s4, ttmp6, 0x40008
	s_mul_i32 s2, s3, s2
	s_getreg_b32 s5, hwreg(HW_REG_IB_STS2, 6, 4)
	s_add_co_i32 s4, s4, s2
	s_cmp_eq_u32 s5, 0
	v_bfe_u32 v1, v0, 10, 10
	s_cselect_b32 s8, s3, s4
	v_and_b32_e32 v0, 0x3ff, v0
	s_wait_kmcnt 0x0
	s_load_b64 s[6:7], s[12:13], s8 offset:0x0 scale_offset
	s_clause 0x1
	s_load_b64 s[4:5], s[0:1], 0x0
	s_load_b32 s3, s[0:1], 0x44
	v_cmp_eq_u32_e64 s2, 0, v1
	s_lshl_b64 s[10:11], s[14:15], 2
	s_wait_kmcnt 0x0
	s_add_nc_u64 s[6:7], s[6:7], s[10:11]
	s_and_saveexec_b32 s9, s2
	s_cbranch_execz .LBB3_4
; %bb.1:
	v_mov_b32_e32 v2, 0
	s_mov_b32 s10, exec_lo
	v_cmpx_gt_i32_e64 s4, v0
	s_cbranch_execz .LBB3_3
; %bb.2:
	flat_load_b32 v2, v0, s[6:7] scale_offset
.LBB3_3:
	s_wait_xcnt 0x0
	s_or_b32 exec_lo, exec_lo, s10
	v_lshl_add_u32 v3, v0, 2, 0
	s_wait_loadcnt_dscnt 0x0
	ds_store_b32 v3, v2
.LBB3_4:
	s_or_b32 exec_lo, exec_lo, s9
	s_cmp_lt_i32 s5, 1
	s_cbranch_scc1 .LBB3_25
; %bb.5:
	s_load_b32 s10, s[0:1], 0x18
	v_dual_lshlrev_b32 v6, 2, v0 :: v_dual_add_nc_u32 v2, 2, v1
	s_lshr_b32 s11, s3, 16
	s_and_b32 s3, s3, 0xffff
	s_delay_alu instid0(VALU_DEP_1)
	v_dual_lshlrev_b32 v7, 2, v1 :: v_dual_add_nc_u32 v3, 0, v6
	s_lshl_b32 s3, s3, 2
	v_cmp_gt_u32_e32 vcc_lo, s5, v0
	s_add_co_i32 s13, s3, 0
	v_cmp_gt_i32_e64 s3, s4, v0
	v_dual_add_nc_u32 v6, s13, v6 :: v_dual_mov_b32 v8, 0
	v_add3_u32 v7, s13, v7, 8
	s_mov_b32 s12, 0
	s_and_b32 s4, s2, vcc_lo
	s_add_co_i32 s14, s5, -1
	s_lshl_b32 s16, s11, 2
	s_mov_b32 s9, 0
	s_wait_kmcnt 0x0
	v_mul_lo_u32 v4, s10, v0
	v_mad_u32 v5, s10, v2, v0
	s_mul_i32 s15, s10, s11
	s_branch .LBB3_7
.LBB3_6:                                ;   in Loop: Header=BB3_7 Depth=1
	s_or_b32 exec_lo, exec_lo, s17
	v_dual_add_nc_u32 v5, s10, v5 :: v_dual_add_nc_u32 v7, 4, v7
	s_add_co_i32 s12, s12, 1
	s_delay_alu instid0(SALU_CYCLE_1)
	s_cmp_eq_u32 s12, s5
	s_cbranch_scc1 .LBB3_26
.LBB3_7:                                ; =>This Loop Header: Depth=1
                                        ;     Child Loop BB3_15 Depth 2
	s_lshl_b32 s17, s12, 2
	s_wait_dscnt 0x0
	s_add_co_i32 s18, s17, 0
	s_barrier_signal -1
	v_mov_b32_e32 v9, s18
	s_barrier_wait -1
	s_cmp_eq_u32 s9, 0
	s_cselect_b32 s18, -1, 0
	ds_load_b32 v10, v9
                                        ; implicit-def: $vgpr9
	s_wait_dscnt 0x0
	v_cmp_eq_f32_e32 vcc_lo, 0, v10
	s_and_b32 s18, vcc_lo, s18
	s_delay_alu instid0(SALU_CYCLE_1)
	s_and_not1_b32 vcc_lo, exec_lo, s18
	s_mov_b32 s18, -1
	s_cbranch_vccnz .LBB3_20
; %bb.8:                                ;   in Loop: Header=BB3_7 Depth=1
	s_and_not1_b32 vcc_lo, exec_lo, s18
	s_cbranch_vccz .LBB3_21
.LBB3_9:                                ;   in Loop: Header=BB3_7 Depth=1
	s_mov_b32 s18, exec_lo
	v_cmpx_ne_u32_e64 s12, v0
	s_cbranch_execnz .LBB3_22
.LBB3_10:                               ;   in Loop: Header=BB3_7 Depth=1
	s_or_b32 exec_lo, exec_lo, s18
	s_and_saveexec_b32 s18, s4
	s_cbranch_execz .LBB3_12
.LBB3_11:                               ;   in Loop: Header=BB3_7 Depth=1
	v_add_nc_u32_e32 v10, s12, v4
	flat_load_b32 v10, v10, s[6:7] scale_offset
	s_wait_loadcnt_dscnt 0x0
	ds_store_b32 v6, v10
.LBB3_12:                               ;   in Loop: Header=BB3_7 Depth=1
	s_wait_xcnt 0x0
	s_or_b32 exec_lo, exec_lo, s18
	v_cmp_lt_u32_e32 vcc_lo, s12, v0
	s_wait_storecnt_dscnt 0x0
	s_barrier_signal -1
	s_barrier_wait -1
	s_and_b32 s19, s3, vcc_lo
	s_delay_alu instid0(SALU_CYCLE_1)
	s_and_saveexec_b32 s18, s19
	s_cbranch_execz .LBB3_18
; %bb.13:                               ;   in Loop: Header=BB3_7 Depth=1
	v_add_nc_u32_e32 v10, s12, v2
	s_mov_b32 s19, exec_lo
	s_delay_alu instid0(VALU_DEP_1)
	v_cmpx_gt_i32_e64 s5, v10
	s_cbranch_execz .LBB3_16
; %bb.14:                               ;   in Loop: Header=BB3_7 Depth=1
	v_dual_mov_b32 v11, v7 :: v_dual_mov_b32 v12, v5
	s_mov_b32 s20, 0
.LBB3_15:                               ;   Parent Loop BB3_7 Depth=1
                                        ; =>  This Inner Loop Header: Depth=2
	flat_load_b32 v13, v12, s[6:7] scale_offset
	ds_load_b32 v14, v11
	v_dual_add_nc_u32 v10, s11, v10 :: v_dual_add_nc_u32 v11, s16, v11
	s_wait_loadcnt_dscnt 0x0
	v_fma_f32 v13, -v9, v14, v13
	flat_store_b32 v12, v13, s[6:7] scale_offset
	s_wait_xcnt 0x0
	v_add_nc_u32_e32 v12, s15, v12
	v_cmp_le_i32_e32 vcc_lo, s5, v10
	s_or_b32 s20, vcc_lo, s20
	s_delay_alu instid0(SALU_CYCLE_1)
	s_and_not1_b32 exec_lo, exec_lo, s20
	s_cbranch_execnz .LBB3_15
.LBB3_16:                               ;   in Loop: Header=BB3_7 Depth=1
	s_or_b32 exec_lo, exec_lo, s19
	s_cmp_lt_i32 s12, s14
	s_cselect_b32 s19, -1, 0
	s_delay_alu instid0(SALU_CYCLE_1) | instskip(NEXT) | instid1(SALU_CYCLE_1)
	s_and_b32 s19, s2, s19
	s_and_b32 exec_lo, exec_lo, s19
	s_cbranch_execz .LBB3_18
; %bb.17:                               ;   in Loop: Header=BB3_7 Depth=1
	s_add_co_i32 s19, s12, 1
	s_add_co_i32 s17, s13, s17
	v_mad_u32 v10, s19, s10, v0
	v_mov_b32_e32 v12, s17
	ds_load_b32 v12, v12 offset:4
	flat_load_b32 v11, v10, s[6:7] scale_offset
	s_wait_loadcnt_dscnt 0x0
	v_fma_f32 v9, -v9, v12, v11
	flat_store_b32 v10, v9, s[6:7] scale_offset
	ds_store_b32 v3, v9
.LBB3_18:                               ;   in Loop: Header=BB3_7 Depth=1
	s_wait_xcnt 0x0
	s_or_b32 exec_lo, exec_lo, s18
	v_cmp_ge_u32_e32 vcc_lo, s12, v0
	s_and_b32 s18, s2, vcc_lo
	s_delay_alu instid0(SALU_CYCLE_1)
	s_and_saveexec_b32 s17, s18
	s_cbranch_execz .LBB3_6
; %bb.19:                               ;   in Loop: Header=BB3_7 Depth=1
	ds_store_b32 v3, v8
	s_branch .LBB3_6
.LBB3_20:                               ;   in Loop: Header=BB3_7 Depth=1
	v_div_scale_f32 v9, null, v10, v10, 1.0
	s_delay_alu instid0(VALU_DEP_1)
	v_rcp_f32_e32 v11, v9
	v_nop
	v_xor_b32_e32 v9, 0x80000000, v9
	s_delay_alu instid0(TRANS32_DEP_1) | instid1(VALU_DEP_1)
	v_fma_f32 v12, v9, v11, 1.0
	s_delay_alu instid0(VALU_DEP_1) | instskip(SKIP_1) | instid1(VALU_DEP_1)
	v_fmac_f32_e32 v11, v12, v11
	v_div_scale_f32 v12, vcc_lo, 1.0, v10, 1.0
	v_mul_f32_e32 v13, v12, v11
	s_delay_alu instid0(VALU_DEP_1) | instskip(NEXT) | instid1(VALU_DEP_1)
	v_fma_f32 v14, v9, v13, v12
	v_fmac_f32_e32 v13, v14, v11
	s_delay_alu instid0(VALU_DEP_1) | instskip(NEXT) | instid1(VALU_DEP_1)
	v_fmac_f32_e32 v12, v9, v13
	v_div_fmas_f32 v9, v12, v11, v13
	s_delay_alu instid0(VALU_DEP_1)
	v_div_fixup_f32 v9, v9, v10, 1.0
	s_cbranch_execnz .LBB3_9
.LBB3_21:                               ;   in Loop: Header=BB3_7 Depth=1
	v_mov_b32_e32 v9, v10
	s_add_co_i32 s9, s12, 1
	s_mov_b32 s18, exec_lo
	v_cmpx_ne_u32_e64 s12, v0
	s_cbranch_execz .LBB3_10
.LBB3_22:                               ;   in Loop: Header=BB3_7 Depth=1
	ds_load_b32 v10, v3
	v_cmp_le_u32_e32 vcc_lo, s12, v0
	s_and_b32 s19, s2, vcc_lo
	s_delay_alu instid0(SALU_CYCLE_1)
	s_and_b32 s20, s3, s19
	s_wait_dscnt 0x0
	v_mul_f32_e32 v9, v9, v10
	s_and_saveexec_b32 s19, s20
	s_cbranch_execz .LBB3_24
; %bb.23:                               ;   in Loop: Header=BB3_7 Depth=1
	v_mad_u32 v10, s12, s10, v0
	flat_store_b32 v10, v9, s[6:7] scale_offset
.LBB3_24:                               ;   in Loop: Header=BB3_7 Depth=1
	s_wait_xcnt 0x0
	s_or_b32 exec_lo, exec_lo, s19
	s_delay_alu instid0(SALU_CYCLE_1)
	s_or_b32 exec_lo, exec_lo, s18
	s_and_saveexec_b32 s18, s4
	s_cbranch_execnz .LBB3_11
	s_branch .LBB3_12
.LBB3_25:
	s_mov_b32 s9, 0
.LBB3_26:
	s_mov_b32 s3, 0
	s_mov_b32 s2, exec_lo
	v_cmpx_eq_u32_e32 0, v0
	s_cbranch_execz .LBB3_29
; %bb.27:
	s_load_b64 s[4:5], s[0:1], 0x28
	v_mov_b32_e32 v0, s8
	s_cmp_gt_i32 s9, 0
	s_cselect_b32 s2, -1, 0
	s_wait_kmcnt 0x0
	global_load_b32 v0, v0, s[4:5] scale_offset
	s_wait_loadcnt 0x0
	v_or_b32_e32 v0, v0, v1
	s_delay_alu instid0(VALU_DEP_1) | instskip(SKIP_1) | instid1(SALU_CYCLE_1)
	v_cmp_eq_u32_e32 vcc_lo, 0, v0
	s_and_b32 s2, vcc_lo, s2
	s_and_b32 exec_lo, exec_lo, s2
	s_cbranch_execz .LBB3_29
; %bb.28:
	s_load_b32 s0, s[0:1], 0x34
	s_lshl_b32 s2, s8, 2
	s_wait_kmcnt 0x0
	s_add_co_i32 s0, s9, s0
	s_delay_alu instid0(SALU_CYCLE_1)
	v_dual_mov_b32 v0, 0 :: v_dual_mov_b32 v1, s0
	s_add_nc_u64 s[0:1], s[4:5], s[2:3]
	global_store_b32 v0, v1, s[0:1]
.LBB3_29:
	s_endpgm
	.section	.rodata,"a",@progbits
	.p2align	6, 0x0
	.amdhsa_kernel _ZN9rocsolver6v33100L23getf2_npvt_panel_kernelIfiiPKPfEEvT0_S5_T2_lS5_lPT1_S5_S5_
		.amdhsa_group_segment_fixed_size 0
		.amdhsa_private_segment_fixed_size 0
		.amdhsa_kernarg_size 312
		.amdhsa_user_sgpr_count 2
		.amdhsa_user_sgpr_dispatch_ptr 0
		.amdhsa_user_sgpr_queue_ptr 0
		.amdhsa_user_sgpr_kernarg_segment_ptr 1
		.amdhsa_user_sgpr_dispatch_id 0
		.amdhsa_user_sgpr_kernarg_preload_length 0
		.amdhsa_user_sgpr_kernarg_preload_offset 0
		.amdhsa_user_sgpr_private_segment_size 0
		.amdhsa_wavefront_size32 1
		.amdhsa_uses_dynamic_stack 0
		.amdhsa_enable_private_segment 0
		.amdhsa_system_sgpr_workgroup_id_x 1
		.amdhsa_system_sgpr_workgroup_id_y 0
		.amdhsa_system_sgpr_workgroup_id_z 1
		.amdhsa_system_sgpr_workgroup_info 0
		.amdhsa_system_vgpr_workitem_id 1
		.amdhsa_next_free_vgpr 15
		.amdhsa_next_free_sgpr 21
		.amdhsa_named_barrier_count 0
		.amdhsa_reserve_vcc 1
		.amdhsa_float_round_mode_32 0
		.amdhsa_float_round_mode_16_64 0
		.amdhsa_float_denorm_mode_32 3
		.amdhsa_float_denorm_mode_16_64 3
		.amdhsa_fp16_overflow 0
		.amdhsa_memory_ordered 1
		.amdhsa_forward_progress 1
		.amdhsa_inst_pref_size 10
		.amdhsa_round_robin_scheduling 0
		.amdhsa_exception_fp_ieee_invalid_op 0
		.amdhsa_exception_fp_denorm_src 0
		.amdhsa_exception_fp_ieee_div_zero 0
		.amdhsa_exception_fp_ieee_overflow 0
		.amdhsa_exception_fp_ieee_underflow 0
		.amdhsa_exception_fp_ieee_inexact 0
		.amdhsa_exception_int_div_zero 0
	.end_amdhsa_kernel
	.section	.text._ZN9rocsolver6v33100L23getf2_npvt_panel_kernelIfiiPKPfEEvT0_S5_T2_lS5_lPT1_S5_S5_,"axG",@progbits,_ZN9rocsolver6v33100L23getf2_npvt_panel_kernelIfiiPKPfEEvT0_S5_T2_lS5_lPT1_S5_S5_,comdat
.Lfunc_end3:
	.size	_ZN9rocsolver6v33100L23getf2_npvt_panel_kernelIfiiPKPfEEvT0_S5_T2_lS5_lPT1_S5_S5_, .Lfunc_end3-_ZN9rocsolver6v33100L23getf2_npvt_panel_kernelIfiiPKPfEEvT0_S5_T2_lS5_lPT1_S5_S5_
                                        ; -- End function
	.set _ZN9rocsolver6v33100L23getf2_npvt_panel_kernelIfiiPKPfEEvT0_S5_T2_lS5_lPT1_S5_S5_.num_vgpr, 15
	.set _ZN9rocsolver6v33100L23getf2_npvt_panel_kernelIfiiPKPfEEvT0_S5_T2_lS5_lPT1_S5_S5_.num_agpr, 0
	.set _ZN9rocsolver6v33100L23getf2_npvt_panel_kernelIfiiPKPfEEvT0_S5_T2_lS5_lPT1_S5_S5_.numbered_sgpr, 21
	.set _ZN9rocsolver6v33100L23getf2_npvt_panel_kernelIfiiPKPfEEvT0_S5_T2_lS5_lPT1_S5_S5_.num_named_barrier, 0
	.set _ZN9rocsolver6v33100L23getf2_npvt_panel_kernelIfiiPKPfEEvT0_S5_T2_lS5_lPT1_S5_S5_.private_seg_size, 0
	.set _ZN9rocsolver6v33100L23getf2_npvt_panel_kernelIfiiPKPfEEvT0_S5_T2_lS5_lPT1_S5_S5_.uses_vcc, 1
	.set _ZN9rocsolver6v33100L23getf2_npvt_panel_kernelIfiiPKPfEEvT0_S5_T2_lS5_lPT1_S5_S5_.uses_flat_scratch, 0
	.set _ZN9rocsolver6v33100L23getf2_npvt_panel_kernelIfiiPKPfEEvT0_S5_T2_lS5_lPT1_S5_S5_.has_dyn_sized_stack, 0
	.set _ZN9rocsolver6v33100L23getf2_npvt_panel_kernelIfiiPKPfEEvT0_S5_T2_lS5_lPT1_S5_S5_.has_recursion, 0
	.set _ZN9rocsolver6v33100L23getf2_npvt_panel_kernelIfiiPKPfEEvT0_S5_T2_lS5_lPT1_S5_S5_.has_indirect_call, 0
	.section	.AMDGPU.csdata,"",@progbits
; Kernel info:
; codeLenInByte = 1156
; TotalNumSgprs: 23
; NumVgprs: 15
; ScratchSize: 0
; MemoryBound: 0
; FloatMode: 240
; IeeeMode: 1
; LDSByteSize: 0 bytes/workgroup (compile time only)
; SGPRBlocks: 0
; VGPRBlocks: 0
; NumSGPRsForWavesPerEU: 23
; NumVGPRsForWavesPerEU: 15
; NamedBarCnt: 0
; Occupancy: 16
; WaveLimiterHint : 1
; COMPUTE_PGM_RSRC2:SCRATCH_EN: 0
; COMPUTE_PGM_RSRC2:USER_SGPR: 2
; COMPUTE_PGM_RSRC2:TRAP_HANDLER: 0
; COMPUTE_PGM_RSRC2:TGID_X_EN: 1
; COMPUTE_PGM_RSRC2:TGID_Y_EN: 0
; COMPUTE_PGM_RSRC2:TGID_Z_EN: 1
; COMPUTE_PGM_RSRC2:TIDIG_COMP_CNT: 1
	.section	.text._ZN9rocsolver6v33100L25getf2_scale_update_kernelIfiPfEEvT0_S3_PT_T1_lS3_l,"axG",@progbits,_ZN9rocsolver6v33100L25getf2_scale_update_kernelIfiPfEEvT0_S3_PT_T1_lS3_l,comdat
	.globl	_ZN9rocsolver6v33100L25getf2_scale_update_kernelIfiPfEEvT0_S3_PT_T1_lS3_l ; -- Begin function _ZN9rocsolver6v33100L25getf2_scale_update_kernelIfiPfEEvT0_S3_PT_T1_lS3_l
	.p2align	8
	.type	_ZN9rocsolver6v33100L25getf2_scale_update_kernelIfiPfEEvT0_S3_PT_T1_lS3_l,@function
_ZN9rocsolver6v33100L25getf2_scale_update_kernelIfiPfEEvT0_S3_PT_T1_lS3_l: ; @_ZN9rocsolver6v33100L25getf2_scale_update_kernelIfiPfEEvT0_S3_PT_T1_lS3_l
; %bb.0:
	s_clause 0x4
	s_load_b96 s[8:10], s[0:1], 0x18
	s_load_b32 s11, s[0:1], 0x3c
	s_load_b64 s[14:15], s[0:1], 0x28
	s_load_b64 s[2:3], s[0:1], 0x0
	s_load_b128 s[4:7], s[0:1], 0x8
	s_wait_xcnt 0x0
	s_bfe_u32 s0, ttmp6, 0x40014
	s_lshr_b32 s12, ttmp7, 16
	s_add_co_i32 s13, s0, 1
	s_bfe_u32 s1, ttmp6, 0x40008
	s_mul_i32 s13, s12, s13
	s_getreg_b32 s0, hwreg(HW_REG_IB_STS2, 6, 4)
	s_add_co_i32 s16, s1, s13
	s_mov_b32 s13, 0
	v_and_b32_e32 v1, 0x3ff, v0
	v_bfe_u32 v0, v0, 10, 10
	s_wait_kmcnt 0x0
	s_ashr_i32 s17, s10, 31
	s_lshr_b32 s1, s11, 16
	s_and_b32 s11, s11, 0xffff
	s_cmp_eq_u32 s0, 0
	v_mad_u32_u24 v2, v1, s1, v0
	s_cselect_b32 s12, s12, s16
	s_mov_b32 s16, s10
	s_mul_u64 s[14:15], s[14:15], s[12:13]
	s_lshl_b64 s[8:9], s[8:9], 2
	s_lshl_b64 s[14:15], s[14:15], 2
	s_mov_b32 s13, exec_lo
	s_add_nc_u64 s[6:7], s[6:7], s[14:15]
	s_delay_alu instid0(SALU_CYCLE_1) | instskip(SKIP_1) | instid1(SALU_CYCLE_1)
	s_add_nc_u64 s[8:9], s[6:7], s[8:9]
	s_lshl_b64 s[6:7], s[16:17], 2
	s_add_nc_u64 s[6:7], s[8:9], s[6:7]
	v_cmpx_gt_i32_e64 s3, v2
	s_cbranch_execz .LBB4_2
; %bb.1:
	v_mul_lo_u32 v3, v2, s10
	v_lshlrev_b32_e32 v2, 2, v2
	s_lshl_b32 s14, s11, 2
	s_delay_alu instid0(VALU_DEP_1) | instid1(SALU_CYCLE_1)
	v_add3_u32 v2, 0, s14, v2
	global_load_b32 v3, v3, s[6:7] scale_offset
	s_wait_loadcnt 0x0
	ds_store_b32 v2, v3
.LBB4_2:
	s_or_b32 exec_lo, exec_lo, s13
	s_bfe_u32 s13, ttmp6, 0x4000c
	s_and_b32 s14, ttmp6, 15
	s_add_co_i32 s13, s13, 1
	v_lshl_add_u32 v2, v1, 2, 0
	s_mul_i32 s13, ttmp9, s13
	s_delay_alu instid0(SALU_CYCLE_1) | instskip(SKIP_3) | instid1(SALU_CYCLE_1)
	s_add_co_i32 s14, s14, s13
	s_cmp_eq_u32 s0, 0
	v_cmp_eq_u32_e64 s0, 0, v0
	s_cselect_b32 s13, ttmp9, s14
	s_mul_i32 s13, s13, s11
	s_delay_alu instid0(SALU_CYCLE_1) | instskip(NEXT) | instid1(VALU_DEP_1)
	v_add_nc_u32_e32 v3, s13, v1
	v_cmp_gt_i32_e32 vcc_lo, s2, v3
	s_and_b32 s2, s0, vcc_lo
	s_delay_alu instid0(SALU_CYCLE_1)
	s_and_saveexec_b32 s0, s2
	s_cbranch_execz .LBB4_4
; %bb.3:
	global_load_b32 v4, v3, s[8:9] offset:4 scale_offset
	s_load_b32 s2, s[4:5], s12 offset:0x0 scale_offset
	s_wait_loadcnt 0x0
	s_wait_kmcnt 0x0
	v_mul_f32_e32 v4, s2, v4
	ds_store_b32 v2, v4
	global_store_b32 v3, v4, s[8:9] offset:4 scale_offset
.LBB4_4:
	s_wait_xcnt 0x0
	s_or_b32 exec_lo, exec_lo, s0
	v_cmp_gt_i32_e64 s0, s3, v0
	s_wait_storecnt_dscnt 0x0
	s_barrier_signal -1
	s_barrier_wait -1
	s_and_b32 s0, vcc_lo, s0
	s_delay_alu instid0(SALU_CYCLE_1)
	s_and_saveexec_b32 s2, s0
	s_cbranch_execz .LBB4_7
; %bb.5:
	ds_load_b32 v2, v2
	v_mul_lo_u32 v3, v0, s10
	v_lshlrev_b32_e32 v4, 2, v0
	s_lshl_b32 s0, s11, 2
	s_mul_i32 s2, s10, s1
	s_lshl_b32 s4, s1, 2
	s_delay_alu instid0(VALU_DEP_2)
	v_add3_u32 v1, v1, v3, s13
	v_add3_u32 v3, 0, s0, v4
	s_mov_b32 s0, 0
.LBB4_6:                                ; =>This Inner Loop Header: Depth=1
	global_load_b32 v4, v1, s[6:7] offset:4 scale_offset
	ds_load_b32 v5, v3
	v_dual_add_nc_u32 v0, s1, v0 :: v_dual_add_nc_u32 v3, s4, v3
	s_wait_loadcnt_dscnt 0x0
	v_fma_f32 v4, -v2, v5, v4
	s_delay_alu instid0(VALU_DEP_2) | instskip(SKIP_4) | instid1(SALU_CYCLE_1)
	v_cmp_le_i32_e32 vcc_lo, s3, v0
	global_store_b32 v1, v4, s[6:7] offset:4 scale_offset
	s_wait_xcnt 0x0
	v_add_nc_u32_e32 v1, s2, v1
	s_or_b32 s0, vcc_lo, s0
	s_and_not1_b32 exec_lo, exec_lo, s0
	s_cbranch_execnz .LBB4_6
.LBB4_7:
	s_endpgm
	.section	.rodata,"a",@progbits
	.p2align	6, 0x0
	.amdhsa_kernel _ZN9rocsolver6v33100L25getf2_scale_update_kernelIfiPfEEvT0_S3_PT_T1_lS3_l
		.amdhsa_group_segment_fixed_size 0
		.amdhsa_private_segment_fixed_size 0
		.amdhsa_kernarg_size 304
		.amdhsa_user_sgpr_count 2
		.amdhsa_user_sgpr_dispatch_ptr 0
		.amdhsa_user_sgpr_queue_ptr 0
		.amdhsa_user_sgpr_kernarg_segment_ptr 1
		.amdhsa_user_sgpr_dispatch_id 0
		.amdhsa_user_sgpr_kernarg_preload_length 0
		.amdhsa_user_sgpr_kernarg_preload_offset 0
		.amdhsa_user_sgpr_private_segment_size 0
		.amdhsa_wavefront_size32 1
		.amdhsa_uses_dynamic_stack 0
		.amdhsa_enable_private_segment 0
		.amdhsa_system_sgpr_workgroup_id_x 1
		.amdhsa_system_sgpr_workgroup_id_y 0
		.amdhsa_system_sgpr_workgroup_id_z 1
		.amdhsa_system_sgpr_workgroup_info 0
		.amdhsa_system_vgpr_workitem_id 1
		.amdhsa_next_free_vgpr 6
		.amdhsa_next_free_sgpr 18
		.amdhsa_named_barrier_count 0
		.amdhsa_reserve_vcc 1
		.amdhsa_float_round_mode_32 0
		.amdhsa_float_round_mode_16_64 0
		.amdhsa_float_denorm_mode_32 3
		.amdhsa_float_denorm_mode_16_64 3
		.amdhsa_fp16_overflow 0
		.amdhsa_memory_ordered 1
		.amdhsa_forward_progress 1
		.amdhsa_inst_pref_size 5
		.amdhsa_round_robin_scheduling 0
		.amdhsa_exception_fp_ieee_invalid_op 0
		.amdhsa_exception_fp_denorm_src 0
		.amdhsa_exception_fp_ieee_div_zero 0
		.amdhsa_exception_fp_ieee_overflow 0
		.amdhsa_exception_fp_ieee_underflow 0
		.amdhsa_exception_fp_ieee_inexact 0
		.amdhsa_exception_int_div_zero 0
	.end_amdhsa_kernel
	.section	.text._ZN9rocsolver6v33100L25getf2_scale_update_kernelIfiPfEEvT0_S3_PT_T1_lS3_l,"axG",@progbits,_ZN9rocsolver6v33100L25getf2_scale_update_kernelIfiPfEEvT0_S3_PT_T1_lS3_l,comdat
.Lfunc_end4:
	.size	_ZN9rocsolver6v33100L25getf2_scale_update_kernelIfiPfEEvT0_S3_PT_T1_lS3_l, .Lfunc_end4-_ZN9rocsolver6v33100L25getf2_scale_update_kernelIfiPfEEvT0_S3_PT_T1_lS3_l
                                        ; -- End function
	.set _ZN9rocsolver6v33100L25getf2_scale_update_kernelIfiPfEEvT0_S3_PT_T1_lS3_l.num_vgpr, 6
	.set _ZN9rocsolver6v33100L25getf2_scale_update_kernelIfiPfEEvT0_S3_PT_T1_lS3_l.num_agpr, 0
	.set _ZN9rocsolver6v33100L25getf2_scale_update_kernelIfiPfEEvT0_S3_PT_T1_lS3_l.numbered_sgpr, 18
	.set _ZN9rocsolver6v33100L25getf2_scale_update_kernelIfiPfEEvT0_S3_PT_T1_lS3_l.num_named_barrier, 0
	.set _ZN9rocsolver6v33100L25getf2_scale_update_kernelIfiPfEEvT0_S3_PT_T1_lS3_l.private_seg_size, 0
	.set _ZN9rocsolver6v33100L25getf2_scale_update_kernelIfiPfEEvT0_S3_PT_T1_lS3_l.uses_vcc, 1
	.set _ZN9rocsolver6v33100L25getf2_scale_update_kernelIfiPfEEvT0_S3_PT_T1_lS3_l.uses_flat_scratch, 0
	.set _ZN9rocsolver6v33100L25getf2_scale_update_kernelIfiPfEEvT0_S3_PT_T1_lS3_l.has_dyn_sized_stack, 0
	.set _ZN9rocsolver6v33100L25getf2_scale_update_kernelIfiPfEEvT0_S3_PT_T1_lS3_l.has_recursion, 0
	.set _ZN9rocsolver6v33100L25getf2_scale_update_kernelIfiPfEEvT0_S3_PT_T1_lS3_l.has_indirect_call, 0
	.section	.AMDGPU.csdata,"",@progbits
; Kernel info:
; codeLenInByte = 572
; TotalNumSgprs: 20
; NumVgprs: 6
; ScratchSize: 0
; MemoryBound: 0
; FloatMode: 240
; IeeeMode: 1
; LDSByteSize: 0 bytes/workgroup (compile time only)
; SGPRBlocks: 0
; VGPRBlocks: 0
; NumSGPRsForWavesPerEU: 20
; NumVGPRsForWavesPerEU: 6
; NamedBarCnt: 0
; Occupancy: 16
; WaveLimiterHint : 0
; COMPUTE_PGM_RSRC2:SCRATCH_EN: 0
; COMPUTE_PGM_RSRC2:USER_SGPR: 2
; COMPUTE_PGM_RSRC2:TRAP_HANDLER: 0
; COMPUTE_PGM_RSRC2:TGID_X_EN: 1
; COMPUTE_PGM_RSRC2:TGID_Y_EN: 0
; COMPUTE_PGM_RSRC2:TGID_Z_EN: 1
; COMPUTE_PGM_RSRC2:TIDIG_COMP_CNT: 1
	.section	.text._ZN9rocsolver6v33100L25getf2_scale_update_kernelIfiPKPfEEvT0_S5_PT_T1_lS5_l,"axG",@progbits,_ZN9rocsolver6v33100L25getf2_scale_update_kernelIfiPKPfEEvT0_S5_PT_T1_lS5_l,comdat
	.globl	_ZN9rocsolver6v33100L25getf2_scale_update_kernelIfiPKPfEEvT0_S5_PT_T1_lS5_l ; -- Begin function _ZN9rocsolver6v33100L25getf2_scale_update_kernelIfiPKPfEEvT0_S5_PT_T1_lS5_l
	.p2align	8
	.type	_ZN9rocsolver6v33100L25getf2_scale_update_kernelIfiPKPfEEvT0_S5_PT_T1_lS5_l,@function
_ZN9rocsolver6v33100L25getf2_scale_update_kernelIfiPKPfEEvT0_S5_PT_T1_lS5_l: ; @_ZN9rocsolver6v33100L25getf2_scale_update_kernelIfiPKPfEEvT0_S5_PT_T1_lS5_l
; %bb.0:
	s_clause 0x2
	s_load_b96 s[8:10], s[0:1], 0x18
	s_load_b32 s2, s[0:1], 0x3c
	s_load_b128 s[4:7], s[0:1], 0x8
	s_bfe_u32 s3, ttmp6, 0x40014
	s_lshr_b32 s13, ttmp7, 16
	s_add_co_i32 s3, s3, 1
	s_bfe_u32 s11, ttmp6, 0x40008
	s_mul_i32 s3, s13, s3
	s_getreg_b32 s14, hwreg(HW_REG_IB_STS2, 6, 4)
	s_add_co_i32 s3, s11, s3
	v_and_b32_e32 v1, 0x3ff, v0
	v_bfe_u32 v0, v0, 10, 10
	s_wait_kmcnt 0x0
	s_ashr_i32 s17, s10, 31
	s_lshr_b32 s11, s2, 16
	s_and_b32 s12, s2, 0xffff
	s_cmp_eq_u32 s14, 0
	s_mov_b32 s16, s10
	s_cselect_b32 s13, s13, s3
	s_load_b64 s[2:3], s[0:1], 0x0
	s_load_b64 s[18:19], s[6:7], s13 offset:0x0 scale_offset
	s_wait_xcnt 0x0
	s_lshl_b64 s[0:1], s[8:9], 2
	v_mad_u32_u24 v2, v1, s11, v0
	s_wait_kmcnt 0x0
	s_add_nc_u64 s[8:9], s[18:19], s[0:1]
	s_lshl_b64 s[0:1], s[16:17], 2
	s_delay_alu instid0(SALU_CYCLE_1)
	s_add_nc_u64 s[6:7], s[8:9], s[0:1]
	s_mov_b32 s0, exec_lo
	v_cmpx_gt_i32_e64 s3, v2
	s_cbranch_execz .LBB5_2
; %bb.1:
	v_mul_lo_u32 v3, v2, s10
	v_lshlrev_b32_e32 v2, 2, v2
	s_lshl_b32 s1, s12, 2
	s_delay_alu instid0(VALU_DEP_1) | instid1(SALU_CYCLE_1)
	v_add3_u32 v2, 0, s1, v2
	flat_load_b32 v3, v3, s[6:7] scale_offset
	s_wait_loadcnt_dscnt 0x0
	ds_store_b32 v2, v3
.LBB5_2:
	s_or_b32 exec_lo, exec_lo, s0
	s_bfe_u32 s0, ttmp6, 0x4000c
	s_and_b32 s1, ttmp6, 15
	s_add_co_i32 s0, s0, 1
	v_lshl_add_u32 v2, v1, 2, 0
	s_mul_i32 s0, ttmp9, s0
	s_delay_alu instid0(SALU_CYCLE_1) | instskip(SKIP_3) | instid1(SALU_CYCLE_1)
	s_add_co_i32 s1, s1, s0
	s_cmp_eq_u32 s14, 0
	v_cmp_eq_u32_e64 s0, 0, v0
	s_cselect_b32 s1, ttmp9, s1
	s_mul_i32 s1, s1, s12
	s_delay_alu instid0(SALU_CYCLE_1) | instskip(NEXT) | instid1(VALU_DEP_1)
	v_add_nc_u32_e32 v3, s1, v1
	v_cmp_gt_i32_e32 vcc_lo, s2, v3
	s_and_b32 s2, s0, vcc_lo
	s_delay_alu instid0(SALU_CYCLE_1)
	s_and_saveexec_b32 s0, s2
	s_cbranch_execz .LBB5_4
; %bb.3:
	flat_load_b32 v4, v3, s[8:9] offset:4 scale_offset
	s_load_b32 s2, s[4:5], s13 offset:0x0 scale_offset
	s_wait_loadcnt_dscnt 0x0
	s_wait_kmcnt 0x0
	v_mul_f32_e32 v4, s2, v4
	ds_store_b32 v2, v4
	flat_store_b32 v3, v4, s[8:9] offset:4 scale_offset
.LBB5_4:
	s_wait_xcnt 0x0
	s_or_b32 exec_lo, exec_lo, s0
	v_cmp_gt_i32_e64 s0, s3, v0
	s_wait_storecnt_dscnt 0x0
	s_barrier_signal -1
	s_barrier_wait -1
	s_and_b32 s0, vcc_lo, s0
	s_delay_alu instid0(SALU_CYCLE_1)
	s_and_saveexec_b32 s2, s0
	s_cbranch_execz .LBB5_7
; %bb.5:
	v_mul_lo_u32 v3, v0, s10
	v_lshlrev_b32_e32 v4, 2, v0
	s_lshl_b32 s0, s12, 2
	s_lshl_b32 s2, s11, 2
	s_delay_alu instid0(VALU_DEP_2) | instskip(NEXT) | instid1(VALU_DEP_2)
	v_add3_u32 v1, v1, v3, s1
	v_add3_u32 v3, 0, s0, v4
	s_mov_b32 s0, 0
	s_mul_i32 s1, s10, s11
.LBB5_6:                                ; =>This Inner Loop Header: Depth=1
	flat_load_b32 v4, v1, s[6:7] offset:4 scale_offset
	ds_load_b32 v5, v2
	ds_load_b32 v6, v3
	v_dual_add_nc_u32 v0, s11, v0 :: v_dual_add_nc_u32 v3, s2, v3
	s_wait_loadcnt_dscnt 0x0
	v_fma_f32 v4, -v5, v6, v4
	s_delay_alu instid0(VALU_DEP_2) | instskip(SKIP_4) | instid1(SALU_CYCLE_1)
	v_cmp_le_i32_e32 vcc_lo, s3, v0
	flat_store_b32 v1, v4, s[6:7] offset:4 scale_offset
	s_wait_xcnt 0x0
	v_add_nc_u32_e32 v1, s1, v1
	s_or_b32 s0, vcc_lo, s0
	s_and_not1_b32 exec_lo, exec_lo, s0
	s_cbranch_execnz .LBB5_6
.LBB5_7:
	s_endpgm
	.section	.rodata,"a",@progbits
	.p2align	6, 0x0
	.amdhsa_kernel _ZN9rocsolver6v33100L25getf2_scale_update_kernelIfiPKPfEEvT0_S5_PT_T1_lS5_l
		.amdhsa_group_segment_fixed_size 0
		.amdhsa_private_segment_fixed_size 0
		.amdhsa_kernarg_size 304
		.amdhsa_user_sgpr_count 2
		.amdhsa_user_sgpr_dispatch_ptr 0
		.amdhsa_user_sgpr_queue_ptr 0
		.amdhsa_user_sgpr_kernarg_segment_ptr 1
		.amdhsa_user_sgpr_dispatch_id 0
		.amdhsa_user_sgpr_kernarg_preload_length 0
		.amdhsa_user_sgpr_kernarg_preload_offset 0
		.amdhsa_user_sgpr_private_segment_size 0
		.amdhsa_wavefront_size32 1
		.amdhsa_uses_dynamic_stack 0
		.amdhsa_enable_private_segment 0
		.amdhsa_system_sgpr_workgroup_id_x 1
		.amdhsa_system_sgpr_workgroup_id_y 0
		.amdhsa_system_sgpr_workgroup_id_z 1
		.amdhsa_system_sgpr_workgroup_info 0
		.amdhsa_system_vgpr_workitem_id 1
		.amdhsa_next_free_vgpr 7
		.amdhsa_next_free_sgpr 20
		.amdhsa_named_barrier_count 0
		.amdhsa_reserve_vcc 1
		.amdhsa_float_round_mode_32 0
		.amdhsa_float_round_mode_16_64 0
		.amdhsa_float_denorm_mode_32 3
		.amdhsa_float_denorm_mode_16_64 3
		.amdhsa_fp16_overflow 0
		.amdhsa_memory_ordered 1
		.amdhsa_forward_progress 1
		.amdhsa_inst_pref_size 5
		.amdhsa_round_robin_scheduling 0
		.amdhsa_exception_fp_ieee_invalid_op 0
		.amdhsa_exception_fp_denorm_src 0
		.amdhsa_exception_fp_ieee_div_zero 0
		.amdhsa_exception_fp_ieee_overflow 0
		.amdhsa_exception_fp_ieee_underflow 0
		.amdhsa_exception_fp_ieee_inexact 0
		.amdhsa_exception_int_div_zero 0
	.end_amdhsa_kernel
	.section	.text._ZN9rocsolver6v33100L25getf2_scale_update_kernelIfiPKPfEEvT0_S5_PT_T1_lS5_l,"axG",@progbits,_ZN9rocsolver6v33100L25getf2_scale_update_kernelIfiPKPfEEvT0_S5_PT_T1_lS5_l,comdat
.Lfunc_end5:
	.size	_ZN9rocsolver6v33100L25getf2_scale_update_kernelIfiPKPfEEvT0_S5_PT_T1_lS5_l, .Lfunc_end5-_ZN9rocsolver6v33100L25getf2_scale_update_kernelIfiPKPfEEvT0_S5_PT_T1_lS5_l
                                        ; -- End function
	.set _ZN9rocsolver6v33100L25getf2_scale_update_kernelIfiPKPfEEvT0_S5_PT_T1_lS5_l.num_vgpr, 7
	.set _ZN9rocsolver6v33100L25getf2_scale_update_kernelIfiPKPfEEvT0_S5_PT_T1_lS5_l.num_agpr, 0
	.set _ZN9rocsolver6v33100L25getf2_scale_update_kernelIfiPKPfEEvT0_S5_PT_T1_lS5_l.numbered_sgpr, 20
	.set _ZN9rocsolver6v33100L25getf2_scale_update_kernelIfiPKPfEEvT0_S5_PT_T1_lS5_l.num_named_barrier, 0
	.set _ZN9rocsolver6v33100L25getf2_scale_update_kernelIfiPKPfEEvT0_S5_PT_T1_lS5_l.private_seg_size, 0
	.set _ZN9rocsolver6v33100L25getf2_scale_update_kernelIfiPKPfEEvT0_S5_PT_T1_lS5_l.uses_vcc, 1
	.set _ZN9rocsolver6v33100L25getf2_scale_update_kernelIfiPKPfEEvT0_S5_PT_T1_lS5_l.uses_flat_scratch, 0
	.set _ZN9rocsolver6v33100L25getf2_scale_update_kernelIfiPKPfEEvT0_S5_PT_T1_lS5_l.has_dyn_sized_stack, 0
	.set _ZN9rocsolver6v33100L25getf2_scale_update_kernelIfiPKPfEEvT0_S5_PT_T1_lS5_l.has_recursion, 0
	.set _ZN9rocsolver6v33100L25getf2_scale_update_kernelIfiPKPfEEvT0_S5_PT_T1_lS5_l.has_indirect_call, 0
	.section	.AMDGPU.csdata,"",@progbits
; Kernel info:
; codeLenInByte = 560
; TotalNumSgprs: 22
; NumVgprs: 7
; ScratchSize: 0
; MemoryBound: 0
; FloatMode: 240
; IeeeMode: 1
; LDSByteSize: 0 bytes/workgroup (compile time only)
; SGPRBlocks: 0
; VGPRBlocks: 0
; NumSGPRsForWavesPerEU: 22
; NumVGPRsForWavesPerEU: 7
; NamedBarCnt: 0
; Occupancy: 16
; WaveLimiterHint : 1
; COMPUTE_PGM_RSRC2:SCRATCH_EN: 0
; COMPUTE_PGM_RSRC2:USER_SGPR: 2
; COMPUTE_PGM_RSRC2:TRAP_HANDLER: 0
; COMPUTE_PGM_RSRC2:TGID_X_EN: 1
; COMPUTE_PGM_RSRC2:TGID_Y_EN: 0
; COMPUTE_PGM_RSRC2:TGID_Z_EN: 1
; COMPUTE_PGM_RSRC2:TIDIG_COMP_CNT: 1
	.section	.text._ZN9rocsolver6v33100L18getf2_panel_kernelIfllPfEEvT0_S3_T2_lS3_lPS3_llPT1_S3_S3_S5_l,"axG",@progbits,_ZN9rocsolver6v33100L18getf2_panel_kernelIfllPfEEvT0_S3_T2_lS3_lPS3_llPT1_S3_S3_S5_l,comdat
	.globl	_ZN9rocsolver6v33100L18getf2_panel_kernelIfllPfEEvT0_S3_T2_lS3_lPS3_llPT1_S3_S3_S5_l ; -- Begin function _ZN9rocsolver6v33100L18getf2_panel_kernelIfllPfEEvT0_S3_T2_lS3_lPS3_llPT1_S3_S3_S5_l
	.p2align	8
	.type	_ZN9rocsolver6v33100L18getf2_panel_kernelIfllPfEEvT0_S3_T2_lS3_lPS3_llPT1_S3_S3_S5_l,@function
_ZN9rocsolver6v33100L18getf2_panel_kernelIfllPfEEvT0_S3_T2_lS3_lPS3_llPT1_S3_S3_S5_l: ; @_ZN9rocsolver6v33100L18getf2_panel_kernelIfllPfEEvT0_S3_T2_lS3_lPS3_llPT1_S3_S3_S5_l
; %bb.0:
	s_clause 0x2
	s_load_b128 s[20:23], s[0:1], 0x58
	s_load_b64 s[2:3], s[0:1], 0x68
	s_load_b32 s40, s[0:1], 0x7c
	s_bfe_u32 s4, ttmp6, 0x40014
	s_lshr_b32 s5, ttmp7, 16
	s_add_co_i32 s4, s4, 1
	s_bfe_u32 s6, ttmp6, 0x40008
	s_mul_i32 s4, s5, s4
	s_getreg_b32 s7, hwreg(HW_REG_IB_STS2, 6, 4)
	s_add_co_i32 s6, s6, s4
	s_cmp_eq_u32 s7, 0
	s_mov_b32 s29, 0
	s_cselect_b32 s28, s5, s6
	s_mov_b64 s[30:31], 0
	s_wait_kmcnt 0x0
	s_cmp_eq_u64 s[22:23], 0
	s_cselect_b32 s33, -1, 0
	s_delay_alu instid0(SALU_CYCLE_1)
	s_and_b32 vcc_lo, exec_lo, s33
	s_cbranch_vccnz .LBB6_2
; %bb.1:
	s_mul_u64 s[2:3], s[2:3], s[28:29]
	s_delay_alu instid0(SALU_CYCLE_1) | instskip(NEXT) | instid1(SALU_CYCLE_1)
	s_lshl_b64 s[2:3], s[2:3], 3
	s_add_nc_u64 s[30:31], s[22:23], s[2:3]
.LBB6_2:
	s_load_b512 s[4:19], s[0:1], 0x0
	v_bfe_u32 v4, v0, 10, 10
	s_and_b32 s3, s40, 0xffff
	v_and_b32_e32 v0, 0x3ff, v0
	s_lshl_b32 s22, s3, 2
	v_mov_b32_e32 v1, 0
	s_add_co_i32 s42, s22, 8
	v_cmp_eq_u32_e64 s2, 0, v4
                                        ; implicit-def: $vgpr16
	s_wait_kmcnt 0x0
	s_mul_u64 s[14:15], s[14:15], s[28:29]
	s_lshl_b64 s[34:35], s[10:11], 2
	s_lshl_b64 s[38:39], s[14:15], 2
	s_lshl_b32 s14, s6, 2
	s_add_nc_u64 s[10:11], s[8:9], s[38:39]
	s_add_co_i32 s43, s42, s14
	s_add_nc_u64 s[36:37], s[10:11], s[34:35]
	s_add_co_i32 s41, s43, s22
	s_and_saveexec_b32 s10, s2
	s_cbranch_execz .LBB6_6
; %bb.3:
	v_mov_b32_e32 v2, v1
	s_mov_b32 s11, exec_lo
	v_cmpx_gt_i64_e64 s[4:5], v[0:1]
	s_cbranch_execz .LBB6_5
; %bb.4:
	global_load_b32 v2, v0, s[36:37] scale_offset
.LBB6_5:
	s_wait_xcnt 0x0
	s_or_b32 exec_lo, exec_lo, s11
	v_lshlrev_b32_e32 v3, 2, v0
	s_wait_loadcnt 0x0
	v_and_b32_e32 v16, 0x7fffffff, v2
	v_lshl_add_u32 v6, v0, 3, s41
	s_delay_alu instid0(VALU_DEP_3)
	v_dual_add_nc_u32 v5, 8, v3 :: v_dual_add_nc_u32 v3, s43, v3
	ds_store_b32 v5, v2
	ds_store_b32 v3, v16
	ds_store_b64 v6, v[0:1]
.LBB6_6:
	s_or_b32 exec_lo, exec_lo, s10
	s_load_b128 s[24:27], s[0:1], 0x40
	s_wait_xcnt 0x0
	v_cmp_lt_i64_e64 s0, s[6:7], 1
	s_and_b32 vcc_lo, exec_lo, s0
	s_cbranch_vccnz .LBB6_48
; %bb.7:
	v_dual_mov_b32 v3, 0 :: v_dual_add_nc_u32 v2, 2, v4
	v_mul_u64_e32 v[10:11], s[12:13], v[0:1]
	v_dual_lshlrev_b32 v21, 2, v4 :: v_dual_bitop2_b32 v5, v0, v4 bitop3:0x54
	s_wait_kmcnt 0x0
	s_mul_u64 s[24:25], s[24:25], s[28:29]
	v_mul_u64_e32 v[6:7], s[12:13], v[2:3]
	v_cmp_gt_i64_e64 s0, s[4:5], v[0:1]
	v_cmp_le_i64_e64 s1, s[4:5], v[0:1]
	s_add_nc_u64 s[4:5], s[34:35], s[38:39]
	s_lshr_b32 s10, s40, 16
	s_lshl_b64 s[44:45], s[18:19], 3
	s_lshr_b32 s14, s3, 1
	s_lshl_b64 s[24:25], s[24:25], 3
	v_dual_lshlrev_b32 v8, 2, v0 :: v_dual_lshlrev_b32 v12, 3, v0
	s_cmp_gt_u32 s3, 1
	v_mov_b32_e32 v9, v3
	v_cmp_eq_u32_e64 s3, 0, v5
	s_delay_alu instid0(VALU_DEP_3)
	v_add_nc_u32_e32 v17, s43, v8
	v_dual_mov_b32 v13, v3 :: v_dual_add_nc_u32 v18, s41, v12
	v_cmp_gt_u64_e32 vcc_lo, s[6:7], v[0:1]
	v_dual_add_nc_u32 v19, 8, v8 :: v_dual_add_nc_u32 v20, s42, v8
	s_mov_b32 s11, 0
	v_add3_u32 v21, s42, v21, 8
	v_mov_b32_e32 v22, s41
	s_mul_u64 s[34:35], s[12:13], s[10:11]
	s_add_nc_u64 s[38:39], s[16:17], s[24:25]
	s_add_nc_u64 s[18:19], s[20:21], 1
	s_add_nc_u64 s[22:23], s[6:7], -1
	s_mov_b32 s15, s11
	s_cselect_b32 s29, -1, 0
	s_lshl_b64 s[16:17], s[12:13], 2
	s_lshl_b64 s[24:25], s[34:35], 2
	s_add_nc_u64 s[34:35], s[38:39], s[44:45]
	s_and_b32 s44, s2, vcc_lo
	v_lshl_add_u64 v[4:5], v[6:7], 2, s[4:5]
	v_add_nc_u64_e32 v[6:7], s[30:31], v[12:13]
	s_lshl_b32 s45, s10, 2
	s_delay_alu instid0(VALU_DEP_2) | instskip(SKIP_3) | instid1(VALU_DEP_3)
	v_add_nc_u64_e32 v[14:15], v[4:5], v[8:9]
	v_add_nc_u64_e32 v[4:5], s[36:37], v[8:9]
	v_lshl_add_u64 v[8:9], v[10:11], 2, s[36:37]
	s_mov_b64 s[36:37], 0
	v_add_nc_u64_e32 v[10:11], s[8:9], v[14:15]
	s_mov_b64 s[8:9], 0
.LBB6_8:                                ; =>This Loop Header: Depth=1
                                        ;     Child Loop BB6_14 Depth 2
                                        ;     Child Loop BB6_43 Depth 2
	v_mov_b64_e32 v[12:13], v[0:1]
	s_and_not1_b32 vcc_lo, exec_lo, s29
	s_mov_b64 s[38:39], s[14:15]
	s_wait_dscnt 0x0
	s_barrier_signal -1
	s_barrier_wait -1
	s_cbranch_vccz .LBB6_14
.LBB6_9:                                ;   in Loop: Header=BB6_8 Depth=1
	ds_load_b64 v[12:13], v22
	s_wait_dscnt 0x0
	v_lshlrev_b32_e32 v14, 2, v12
	v_readfirstlane_b32 s40, v12
	v_readfirstlane_b32 s41, v13
	s_delay_alu instid0(VALU_DEP_3)
	v_add_nc_u32_e32 v14, 8, v14
	ds_load_b32 v23, v14
	s_wait_dscnt 0x0
	v_cmp_neq_f32_e32 vcc_lo, 0, v23
	s_cbranch_vccz .LBB6_19
; %bb.10:                               ;   in Loop: Header=BB6_8 Depth=1
	v_div_scale_f32 v12, null, v23, v23, 1.0
	s_delay_alu instid0(VALU_DEP_1)
	v_rcp_f32_e32 v13, v12
	v_nop
	v_xor_b32_e32 v12, 0x80000000, v12
	s_delay_alu instid0(TRANS32_DEP_1) | instid1(VALU_DEP_1)
	v_fma_f32 v14, v12, v13, 1.0
	s_delay_alu instid0(VALU_DEP_1) | instskip(SKIP_1) | instid1(VALU_DEP_1)
	v_fmac_f32_e32 v13, v14, v13
	v_div_scale_f32 v14, vcc_lo, 1.0, v23, 1.0
	v_mul_f32_e32 v15, v14, v13
	s_delay_alu instid0(VALU_DEP_1) | instskip(NEXT) | instid1(VALU_DEP_1)
	v_fma_f32 v24, v12, v15, v14
	v_fmac_f32_e32 v15, v24, v13
	s_delay_alu instid0(VALU_DEP_1) | instskip(NEXT) | instid1(VALU_DEP_1)
	v_fmac_f32_e32 v14, v12, v15
	v_div_fmas_f32 v12, v14, v13, v15
	s_delay_alu instid0(VALU_DEP_1)
	v_div_fixup_f32 v12, v12, v23, 1.0
	s_add_nc_u64 s[38:39], s[36:37], 1
	s_cbranch_execnz .LBB6_20
.LBB6_11:                               ;   in Loop: Header=BB6_8 Depth=1
	s_add_nc_u64 s[4:5], s[36:37], 1
	s_cmp_eq_u64 s[8:9], 0
	s_mov_b64 s[40:41], s[36:37]
	s_cselect_b32 s9, s5, s9
	s_cselect_b32 s8, s4, s8
	s_and_saveexec_b32 s4, s3
	s_cbranch_execnz .LBB6_21
	s_branch .LBB6_22
.LBB6_12:                               ;   in Loop: Header=BB6_14 Depth=2
	s_or_b32 exec_lo, exec_lo, s4
.LBB6_13:                               ;   in Loop: Header=BB6_14 Depth=2
	s_delay_alu instid0(SALU_CYCLE_1)
	s_or_b32 exec_lo, exec_lo, s5
	v_cmp_lt_u64_e64 s4, s[38:39], 2
	s_lshr_b64 s[38:39], s[38:39], 1
	s_wait_dscnt 0x0
	s_barrier_signal -1
	s_barrier_wait -1
	s_and_b32 vcc_lo, exec_lo, s4
	s_cbranch_vccnz .LBB6_9
.LBB6_14:                               ;   Parent Loop BB6_8 Depth=1
                                        ; =>  This Inner Loop Header: Depth=2
	v_cmp_gt_u64_e32 vcc_lo, s[38:39], v[0:1]
	s_and_b32 s4, s2, vcc_lo
	s_delay_alu instid0(SALU_CYCLE_1)
	s_and_saveexec_b32 s5, s4
	s_cbranch_execz .LBB6_13
; %bb.15:                               ;   in Loop: Header=BB6_14 Depth=2
	v_lshl_add_u32 v14, s38, 2, v17
	s_mov_b32 s41, exec_lo
	ds_load_b32 v23, v14
	v_lshl_add_u32 v14, s38, 3, v18
	ds_load_b64 v[14:15], v14
	s_wait_dscnt 0x1
	v_cmp_lt_f32_e64 s40, v16, v23
	v_cmpx_nlt_f32_e32 v16, v23
	s_cbranch_execz .LBB6_17
; %bb.16:                               ;   in Loop: Header=BB6_14 Depth=2
	s_wait_dscnt 0x0
	v_cmp_gt_i64_e32 vcc_lo, v[12:13], v[14:15]
	v_cmp_eq_f32_e64 s4, v16, v23
	s_and_not1_b32 s40, s40, exec_lo
	s_and_b32 s4, s4, vcc_lo
	s_delay_alu instid0(SALU_CYCLE_1) | instskip(NEXT) | instid1(SALU_CYCLE_1)
	s_and_b32 s4, s4, exec_lo
	s_or_b32 s40, s40, s4
.LBB6_17:                               ;   in Loop: Header=BB6_14 Depth=2
	s_or_b32 exec_lo, exec_lo, s41
	s_and_saveexec_b32 s4, s40
	s_cbranch_execz .LBB6_12
; %bb.18:                               ;   in Loop: Header=BB6_14 Depth=2
	s_wait_dscnt 0x0
	v_mov_b64_e32 v[12:13], v[14:15]
	v_mov_b32_e32 v16, v23
	ds_store_b32 v17, v23
	ds_store_b64 v18, v[14:15]
	s_branch .LBB6_12
.LBB6_19:                               ;   in Loop: Header=BB6_8 Depth=1
                                        ; implicit-def: $vgpr12
	s_add_nc_u64 s[38:39], s[36:37], 1
	s_branch .LBB6_11
.LBB6_20:                               ;   in Loop: Header=BB6_8 Depth=1
	s_delay_alu instid0(VALU_DEP_1)
	v_mov_b32_e32 v23, v12
	s_and_saveexec_b32 s4, s3
	s_cbranch_execz .LBB6_22
.LBB6_21:                               ;   in Loop: Header=BB6_8 Depth=1
	s_add_nc_u64 s[46:47], s[18:19], s[40:41]
	s_delay_alu instid0(SALU_CYCLE_1) | instskip(SKIP_1) | instid1(SALU_CYCLE_1)
	v_mov_b64_e32 v[12:13], s[46:47]
	s_lshl_b64 s[46:47], s[36:37], 3
	s_add_nc_u64 s[46:47], s[34:35], s[46:47]
	global_store_b64 v3, v[12:13], s[46:47]
.LBB6_22:                               ;   in Loop: Header=BB6_8 Depth=1
	s_wait_xcnt 0x0
	s_or_b32 exec_lo, exec_lo, s4
	s_delay_alu instid0(SALU_CYCLE_1)
	s_mov_b32 s5, exec_lo
	v_cmp_eq_u64_e32 vcc_lo, s[40:41], v[0:1]
	v_cmpx_ne_u64_e64 s[40:41], v[0:1]
	s_cbranch_execz .LBB6_26
; %bb.23:                               ;   in Loop: Header=BB6_8 Depth=1
	ds_load_b32 v12, v19
	v_cmp_le_u64_e64 s4, s[36:37], v[0:1]
	s_and_b32 s4, s0, s4
	s_delay_alu instid0(SALU_CYCLE_1)
	s_and_b32 s46, s2, s4
	s_wait_dscnt 0x0
	v_mul_f32_e32 v23, v23, v12
	s_and_saveexec_b32 s4, s46
	s_cbranch_execz .LBB6_25
; %bb.24:                               ;   in Loop: Header=BB6_8 Depth=1
	s_mul_u64 s[46:47], s[36:37], s[12:13]
	s_delay_alu instid0(SALU_CYCLE_1)
	v_lshl_add_u64 v[12:13], s[46:47], 2, v[4:5]
	global_store_b32 v[12:13], v23, off
.LBB6_25:                               ;   in Loop: Header=BB6_8 Depth=1
	s_wait_xcnt 0x0
	s_or_b32 exec_lo, exec_lo, s4
.LBB6_26:                               ;   in Loop: Header=BB6_8 Depth=1
	s_delay_alu instid0(SALU_CYCLE_1)
	s_or_b32 exec_lo, exec_lo, s5
	v_lshl_add_u64 v[12:13], s[40:41], 2, v[8:9]
	s_and_saveexec_b32 s5, s44
	s_cbranch_execz .LBB6_29
; %bb.27:                               ;   in Loop: Header=BB6_8 Depth=1
	global_load_b32 v14, v[12:13], off
	v_cmp_eq_u64_e64 s4, s[36:37], v[0:1]
	s_wait_loadcnt 0x0
	ds_store_b32 v20, v14
	s_wait_xcnt 0x0
	s_and_b32 exec_lo, exec_lo, s4
; %bb.28:                               ;   in Loop: Header=BB6_8 Depth=1
	ds_store_b32 v3, v23
.LBB6_29:                               ;   in Loop: Header=BB6_8 Depth=1
	s_or_b32 exec_lo, exec_lo, s5
	s_cmp_lg_u64 s[40:41], s[36:37]
	s_wait_storecnt_dscnt 0x0
	s_cselect_b32 s4, -1, 0
	s_barrier_signal -1
	s_and_b32 s4, s44, s4
	s_barrier_wait -1
	s_and_saveexec_b32 s46, s4
	s_cbranch_execz .LBB6_35
; %bb.30:                               ;   in Loop: Header=BB6_8 Depth=1
	s_mov_b64 s[4:5], src_shared_base
	v_cmp_ne_u64_e64 s4, s[36:37], v[0:1]
	v_lshl_add_u64 v[24:25], s[36:37], 2, v[8:9]
	s_add_nc_u64 s[48:49], s[36:37], 1
	s_mov_b32 s47, exec_lo
	s_delay_alu instid0(VALU_DEP_1) | instskip(NEXT) | instid1(VALU_DEP_2)
	v_cndmask_b32_e64 v15, s5, v25, s4
	v_cndmask_b32_e64 v14, 0, v24, s4
	v_cmp_lt_u64_e64 s5, s[36:37], v[0:1]
	flat_load_b32 v14, v[14:15]
	s_wait_xcnt 0x0
	ds_load_b32 v15, v20
	ds_load_b32 v26, v3
	s_wait_dscnt 0x0
	v_mul_f32_e32 v26, v26, v15
	s_delay_alu instid0(VALU_DEP_1) | instskip(SKIP_1) | instid1(VALU_DEP_1)
	v_cndmask_b32_e64 v26, 0, v26, s5
	s_wait_loadcnt 0x0
	v_sub_f32_e32 v14, v14, v26
	s_clause 0x1
	global_store_b32 v[12:13], v14, off
	global_store_b32 v[24:25], v15, off
	s_wait_xcnt 0x0
	v_cmpx_eq_u64_e64 s[48:49], v[0:1]
	s_cbranch_execz .LBB6_32
; %bb.31:                               ;   in Loop: Header=BB6_8 Depth=1
	s_lshl_b32 s5, s40, 2
	v_and_b32_e32 v16, 0x7fffffff, v14
	s_add_co_i32 s48, s5, 8
	s_add_co_i32 s5, s43, s5
	s_delay_alu instid0(SALU_CYCLE_1)
	v_dual_mov_b32 v12, s48 :: v_dual_mov_b32 v13, s5
	ds_store_b32 v12, v14
	ds_store_b32 v13, v16
.LBB6_32:                               ;   in Loop: Header=BB6_8 Depth=1
	s_or_b32 exec_lo, exec_lo, s47
	s_nor_b32 s5, s33, s4
	s_delay_alu instid0(SALU_CYCLE_1)
	s_and_saveexec_b32 s4, s5
	s_cbranch_execz .LBB6_34
; %bb.33:                               ;   in Loop: Header=BB6_8 Depth=1
	s_lshl_b64 s[40:41], s[40:41], 3
	s_delay_alu instid0(SALU_CYCLE_1)
	s_add_nc_u64 s[40:41], s[30:31], s[40:41]
	s_clause 0x1
	global_load_b64 v[12:13], v3, s[40:41]
	global_load_b64 v[14:15], v[6:7], off
	s_wait_loadcnt 0x1
	global_store_b64 v[6:7], v[12:13], off
	s_wait_loadcnt 0x0
	global_store_b64 v3, v[14:15], s[40:41]
.LBB6_34:                               ;   in Loop: Header=BB6_8 Depth=1
	s_wait_xcnt 0x0
	s_or_b32 exec_lo, exec_lo, s4
.LBB6_35:                               ;   in Loop: Header=BB6_8 Depth=1
	s_delay_alu instid0(SALU_CYCLE_1) | instskip(SKIP_2) | instid1(SALU_CYCLE_1)
	s_or_b32 exec_lo, exec_lo, s46
	v_cmp_ge_u64_e64 s4, s[36:37], v[0:1]
	s_or_b32 s5, s1, s4
	s_nor_b32 s40, s5, vcc_lo
	s_delay_alu instid0(SALU_CYCLE_1)
	s_and_saveexec_b32 s5, s40
	s_cbranch_execnz .LBB6_41
; %bb.36:                               ;   in Loop: Header=BB6_8 Depth=1
	s_or_b32 exec_lo, exec_lo, s5
	s_and_b32 s5, s2, s4
	s_delay_alu instid0(SALU_CYCLE_1)
	s_and_saveexec_b32 s4, s5
	s_cbranch_execnz .LBB6_47
.LBB6_37:                               ;   in Loop: Header=BB6_8 Depth=1
	s_or_b32 exec_lo, exec_lo, s4
	s_and_saveexec_b32 s4, s2
.LBB6_38:                               ;   in Loop: Header=BB6_8 Depth=1
	ds_store_b64 v18, v[0:1]
.LBB6_39:                               ;   in Loop: Header=BB6_8 Depth=1
	s_or_b32 exec_lo, exec_lo, s4
	v_add_nc_u64_e32 v[10:11], s[16:17], v[10:11]
	v_add_nc_u32_e32 v21, 4, v21
	s_cmp_eq_u64 s[38:39], s[6:7]
	s_cbranch_scc1 .LBB6_49
; %bb.40:                               ;   in Loop: Header=BB6_8 Depth=1
	s_mov_b64 s[36:37], s[38:39]
	s_branch .LBB6_8
.LBB6_41:                               ;   in Loop: Header=BB6_8 Depth=1
	v_add_nc_u64_e32 v[12:13], s[36:37], v[2:3]
	s_mov_b32 s40, exec_lo
	s_delay_alu instid0(VALU_DEP_1)
	v_cmpx_gt_i64_e64 s[6:7], v[12:13]
	s_cbranch_execz .LBB6_44
; %bb.42:                               ;   in Loop: Header=BB6_8 Depth=1
	v_mov_b64_e32 v[14:15], v[10:11]
	v_mov_b32_e32 v24, v21
	s_mov_b32 s41, 0
.LBB6_43:                               ;   Parent Loop BB6_8 Depth=1
                                        ; =>  This Inner Loop Header: Depth=2
	global_load_b32 v25, v[14:15], off
	ds_load_b32 v26, v24
	v_add_nc_u64_e32 v[12:13], s[10:11], v[12:13]
	v_add_nc_u32_e32 v24, s45, v24
	s_delay_alu instid0(VALU_DEP_2)
	v_cmp_le_i64_e32 vcc_lo, s[6:7], v[12:13]
	s_or_b32 s41, vcc_lo, s41
	s_wait_loadcnt_dscnt 0x0
	v_fma_f32 v25, -v23, v26, v25
	global_store_b32 v[14:15], v25, off
	s_wait_xcnt 0x0
	v_add_nc_u64_e32 v[14:15], s[24:25], v[14:15]
	s_and_not1_b32 exec_lo, exec_lo, s41
	s_cbranch_execnz .LBB6_43
.LBB6_44:                               ;   in Loop: Header=BB6_8 Depth=1
	s_or_b32 exec_lo, exec_lo, s40
	v_cmp_lt_i64_e64 s40, s[36:37], s[22:23]
	s_and_b32 s41, s2, s40
	s_delay_alu instid0(SALU_CYCLE_1)
	s_and_saveexec_b32 s40, s41
	s_cbranch_execz .LBB6_46
; %bb.45:                               ;   in Loop: Header=BB6_8 Depth=1
	s_add_nc_u64 s[46:47], s[36:37], 1
	s_lshl_b32 s36, s36, 2
	s_mul_u64 s[46:47], s[46:47], s[12:13]
	s_add_co_i32 s36, s42, s36
	v_lshl_add_u64 v[12:13], s[46:47], 2, v[4:5]
	v_mov_b32_e32 v15, s36
	global_load_b32 v14, v[12:13], off
	ds_load_b32 v15, v15 offset:4
	s_wait_loadcnt_dscnt 0x0
	v_fma_f32 v14, -v23, v15, v14
	s_delay_alu instid0(VALU_DEP_1)
	v_and_b32_e32 v16, 0x7fffffff, v14
	global_store_b32 v[12:13], v14, off
	ds_store_b32 v19, v14
	ds_store_b32 v17, v16
.LBB6_46:                               ;   in Loop: Header=BB6_8 Depth=1
	s_wait_xcnt 0x0
	s_or_b32 exec_lo, exec_lo, s40
	s_delay_alu instid0(SALU_CYCLE_1) | instskip(SKIP_1) | instid1(SALU_CYCLE_1)
	s_or_b32 exec_lo, exec_lo, s5
	s_and_b32 s5, s2, s4
	s_and_saveexec_b32 s4, s5
	s_cbranch_execz .LBB6_37
.LBB6_47:                               ;   in Loop: Header=BB6_8 Depth=1
	v_mov_b32_e32 v16, 0
	ds_store_b32 v19, v3
	ds_store_b32 v17, v3
	s_or_b32 exec_lo, exec_lo, s4
	s_and_saveexec_b32 s4, s2
	s_cbranch_execnz .LBB6_38
	s_branch .LBB6_39
.LBB6_48:
	s_mov_b64 s[8:9], 0
.LBB6_49:
	s_mov_b32 s1, 0
	s_mov_b32 s0, exec_lo
	v_cmpx_eq_u32_e32 0, v0
	s_cbranch_execz .LBB6_52
; %bb.50:
	v_mov_b32_e32 v0, s28
	v_cmp_gt_i64_e64 s0, s[8:9], 0
	s_wait_kmcnt 0x0
	global_load_b64 v[0:1], v0, s[26:27] scale_offset
	s_wait_loadcnt 0x0
	v_readfirstlane_b32 s4, v0
	v_readfirstlane_b32 s5, v1
	s_cmp_eq_u64 s[4:5], 0
	s_cselect_b32 s3, -1, 0
	s_delay_alu instid0(SALU_CYCLE_1) | instskip(NEXT) | instid1(SALU_CYCLE_1)
	s_and_b32 s0, s3, s0
	s_and_b32 s0, s2, s0
	s_wait_xcnt 0x0
	s_and_b32 exec_lo, exec_lo, s0
	s_cbranch_execz .LBB6_52
; %bb.51:
	s_add_nc_u64 s[2:3], s[8:9], s[20:21]
	v_mov_b32_e32 v2, 0
	v_mov_b64_e32 v[0:1], s[2:3]
	s_lshl_b32 s0, s28, 3
	s_delay_alu instid0(SALU_CYCLE_1)
	s_add_nc_u64 s[0:1], s[26:27], s[0:1]
	global_store_b64 v2, v[0:1], s[0:1]
.LBB6_52:
	s_endpgm
	.section	.rodata,"a",@progbits
	.p2align	6, 0x0
	.amdhsa_kernel _ZN9rocsolver6v33100L18getf2_panel_kernelIfllPfEEvT0_S3_T2_lS3_lPS3_llPT1_S3_S3_S5_l
		.amdhsa_group_segment_fixed_size 8
		.amdhsa_private_segment_fixed_size 0
		.amdhsa_kernarg_size 368
		.amdhsa_user_sgpr_count 2
		.amdhsa_user_sgpr_dispatch_ptr 0
		.amdhsa_user_sgpr_queue_ptr 0
		.amdhsa_user_sgpr_kernarg_segment_ptr 1
		.amdhsa_user_sgpr_dispatch_id 0
		.amdhsa_user_sgpr_kernarg_preload_length 0
		.amdhsa_user_sgpr_kernarg_preload_offset 0
		.amdhsa_user_sgpr_private_segment_size 0
		.amdhsa_wavefront_size32 1
		.amdhsa_uses_dynamic_stack 0
		.amdhsa_enable_private_segment 0
		.amdhsa_system_sgpr_workgroup_id_x 1
		.amdhsa_system_sgpr_workgroup_id_y 0
		.amdhsa_system_sgpr_workgroup_id_z 1
		.amdhsa_system_sgpr_workgroup_info 0
		.amdhsa_system_vgpr_workitem_id 1
		.amdhsa_next_free_vgpr 27
		.amdhsa_next_free_sgpr 50
		.amdhsa_named_barrier_count 0
		.amdhsa_reserve_vcc 1
		.amdhsa_float_round_mode_32 0
		.amdhsa_float_round_mode_16_64 0
		.amdhsa_float_denorm_mode_32 3
		.amdhsa_float_denorm_mode_16_64 3
		.amdhsa_fp16_overflow 0
		.amdhsa_memory_ordered 1
		.amdhsa_forward_progress 1
		.amdhsa_inst_pref_size 17
		.amdhsa_round_robin_scheduling 0
		.amdhsa_exception_fp_ieee_invalid_op 0
		.amdhsa_exception_fp_denorm_src 0
		.amdhsa_exception_fp_ieee_div_zero 0
		.amdhsa_exception_fp_ieee_overflow 0
		.amdhsa_exception_fp_ieee_underflow 0
		.amdhsa_exception_fp_ieee_inexact 0
		.amdhsa_exception_int_div_zero 0
	.end_amdhsa_kernel
	.section	.text._ZN9rocsolver6v33100L18getf2_panel_kernelIfllPfEEvT0_S3_T2_lS3_lPS3_llPT1_S3_S3_S5_l,"axG",@progbits,_ZN9rocsolver6v33100L18getf2_panel_kernelIfllPfEEvT0_S3_T2_lS3_lPS3_llPT1_S3_S3_S5_l,comdat
.Lfunc_end6:
	.size	_ZN9rocsolver6v33100L18getf2_panel_kernelIfllPfEEvT0_S3_T2_lS3_lPS3_llPT1_S3_S3_S5_l, .Lfunc_end6-_ZN9rocsolver6v33100L18getf2_panel_kernelIfllPfEEvT0_S3_T2_lS3_lPS3_llPT1_S3_S3_S5_l
                                        ; -- End function
	.set _ZN9rocsolver6v33100L18getf2_panel_kernelIfllPfEEvT0_S3_T2_lS3_lPS3_llPT1_S3_S3_S5_l.num_vgpr, 27
	.set _ZN9rocsolver6v33100L18getf2_panel_kernelIfllPfEEvT0_S3_T2_lS3_lPS3_llPT1_S3_S3_S5_l.num_agpr, 0
	.set _ZN9rocsolver6v33100L18getf2_panel_kernelIfllPfEEvT0_S3_T2_lS3_lPS3_llPT1_S3_S3_S5_l.numbered_sgpr, 50
	.set _ZN9rocsolver6v33100L18getf2_panel_kernelIfllPfEEvT0_S3_T2_lS3_lPS3_llPT1_S3_S3_S5_l.num_named_barrier, 0
	.set _ZN9rocsolver6v33100L18getf2_panel_kernelIfllPfEEvT0_S3_T2_lS3_lPS3_llPT1_S3_S3_S5_l.private_seg_size, 0
	.set _ZN9rocsolver6v33100L18getf2_panel_kernelIfllPfEEvT0_S3_T2_lS3_lPS3_llPT1_S3_S3_S5_l.uses_vcc, 1
	.set _ZN9rocsolver6v33100L18getf2_panel_kernelIfllPfEEvT0_S3_T2_lS3_lPS3_llPT1_S3_S3_S5_l.uses_flat_scratch, 0
	.set _ZN9rocsolver6v33100L18getf2_panel_kernelIfllPfEEvT0_S3_T2_lS3_lPS3_llPT1_S3_S3_S5_l.has_dyn_sized_stack, 0
	.set _ZN9rocsolver6v33100L18getf2_panel_kernelIfllPfEEvT0_S3_T2_lS3_lPS3_llPT1_S3_S3_S5_l.has_recursion, 0
	.set _ZN9rocsolver6v33100L18getf2_panel_kernelIfllPfEEvT0_S3_T2_lS3_lPS3_llPT1_S3_S3_S5_l.has_indirect_call, 0
	.section	.AMDGPU.csdata,"",@progbits
; Kernel info:
; codeLenInByte = 2136
; TotalNumSgprs: 52
; NumVgprs: 27
; ScratchSize: 0
; MemoryBound: 1
; FloatMode: 240
; IeeeMode: 1
; LDSByteSize: 8 bytes/workgroup (compile time only)
; SGPRBlocks: 0
; VGPRBlocks: 1
; NumSGPRsForWavesPerEU: 52
; NumVGPRsForWavesPerEU: 27
; NamedBarCnt: 0
; Occupancy: 16
; WaveLimiterHint : 0
; COMPUTE_PGM_RSRC2:SCRATCH_EN: 0
; COMPUTE_PGM_RSRC2:USER_SGPR: 2
; COMPUTE_PGM_RSRC2:TRAP_HANDLER: 0
; COMPUTE_PGM_RSRC2:TGID_X_EN: 1
; COMPUTE_PGM_RSRC2:TGID_Y_EN: 0
; COMPUTE_PGM_RSRC2:TGID_Z_EN: 1
; COMPUTE_PGM_RSRC2:TIDIG_COMP_CNT: 1
	.section	.text._ZN9rocsolver6v33100L23getf2_npvt_panel_kernelIfllPfEEvT0_S3_T2_lS3_lPT1_S3_S3_,"axG",@progbits,_ZN9rocsolver6v33100L23getf2_npvt_panel_kernelIfllPfEEvT0_S3_T2_lS3_lPT1_S3_S3_,comdat
	.globl	_ZN9rocsolver6v33100L23getf2_npvt_panel_kernelIfllPfEEvT0_S3_T2_lS3_lPT1_S3_S3_ ; -- Begin function _ZN9rocsolver6v33100L23getf2_npvt_panel_kernelIfllPfEEvT0_S3_T2_lS3_lPT1_S3_S3_
	.p2align	8
	.type	_ZN9rocsolver6v33100L23getf2_npvt_panel_kernelIfllPfEEvT0_S3_T2_lS3_lPT1_S3_S3_,@function
_ZN9rocsolver6v33100L23getf2_npvt_panel_kernelIfllPfEEvT0_S3_T2_lS3_lPT1_S3_S3_: ; @_ZN9rocsolver6v33100L23getf2_npvt_panel_kernelIfllPfEEvT0_S3_T2_lS3_lPT1_S3_S3_
; %bb.0:
	s_clause 0x2
	s_load_b256 s[4:11], s[0:1], 0x20
	s_load_b256 s[12:19], s[0:1], 0x0
	s_load_b32 s3, s[0:1], 0x54
	s_bfe_u32 s2, ttmp6, 0x40014
	s_wait_kmcnt 0x0
	s_lshr_b32 s10, ttmp7, 16
	s_add_co_i32 s2, s2, 1
	s_bfe_u32 s20, ttmp6, 0x40008
	s_mul_i32 s2, s10, s2
	s_getreg_b32 s21, hwreg(HW_REG_IB_STS2, 6, 4)
	s_add_co_i32 s20, s20, s2
	s_cmp_eq_u32 s21, 0
	s_mov_b32 s11, 0
	v_mov_b32_e32 v2, 0
	v_bfe_u32 v4, v0, 10, 10
	s_cselect_b32 s10, s10, s20
	v_and_b32_e32 v0, 0x3ff, v0
	s_delay_alu instid0(VALU_DEP_3) | instskip(NEXT) | instid1(VALU_DEP_3)
	v_mov_b32_e32 v1, v2
	v_cmp_eq_u32_e64 s2, 0, v4
	s_mul_u64 s[6:7], s[6:7], s[10:11]
	s_lshl_b64 s[22:23], s[18:19], 2
	s_lshl_b64 s[20:21], s[6:7], 2
	s_delay_alu instid0(SALU_CYCLE_1) | instskip(NEXT) | instid1(SALU_CYCLE_1)
	s_add_nc_u64 s[6:7], s[16:17], s[20:21]
	s_add_nc_u64 s[6:7], s[6:7], s[22:23]
	s_and_saveexec_b32 s11, s2
	s_cbranch_execz .LBB7_4
; %bb.1:
	s_mov_b32 s18, exec_lo
	v_cmpx_gt_i64_e64 s[12:13], v[0:1]
	s_cbranch_execz .LBB7_3
; %bb.2:
	global_load_b32 v2, v0, s[6:7] scale_offset
.LBB7_3:
	s_wait_xcnt 0x0
	s_or_b32 exec_lo, exec_lo, s18
	v_lshl_add_u32 v3, v0, 2, 0
	s_wait_loadcnt 0x0
	ds_store_b32 v3, v2
.LBB7_4:
	s_or_b32 exec_lo, exec_lo, s11
	v_cmp_lt_i64_e64 s11, s[14:15], 1
	s_and_b32 vcc_lo, exec_lo, s11
	s_cbranch_vccnz .LBB7_26
; %bb.5:
	v_dual_mov_b32 v3, 0 :: v_dual_add_nc_u32 v2, 2, v4
	v_mul_u64_e32 v[8:9], s[4:5], v[0:1]
	s_lshr_b32 s18, s3, 16
	s_and_b32 s11, s3, 0xffff
	v_cmp_gt_i64_e64 s3, s[12:13], v[0:1]
	v_mul_u64_e32 v[6:7], s[4:5], v[2:3]
	s_add_nc_u64 s[12:13], s[22:23], s[20:21]
	v_dual_mov_b32 v11, v3 :: v_dual_lshlrev_b32 v10, 2, v0
	v_lshlrev_b32_e32 v16, 2, v4
	v_cmp_gt_u64_e32 vcc_lo, s[14:15], v[0:1]
	s_lshl_b32 s11, s11, 2
	s_mov_b32 s19, 0
	s_add_co_i32 s11, s11, 0
	v_add_nc_u64_e32 v[4:5], s[6:7], v[10:11]
	v_dual_add_nc_u32 v14, 0, v10 :: v_dual_add_nc_u32 v15, s11, v10
	v_add3_u32 v16, s11, v16, 8
	s_mul_u64 s[20:21], s[4:5], s[18:19]
	s_and_b32 s26, s2, vcc_lo
	s_lshl_b64 s[20:21], s[20:21], 2
	s_lshl_b32 s27, s18, 2
	s_mov_b64 s[22:23], 0
	v_lshl_add_u64 v[6:7], v[6:7], 2, s[12:13]
	s_add_nc_u64 s[12:13], s[14:15], -1
	s_delay_alu instid0(VALU_DEP_1) | instskip(SKIP_2) | instid1(VALU_DEP_2)
	v_add_nc_u64_e32 v[12:13], v[6:7], v[10:11]
	v_lshl_add_u64 v[6:7], v[8:9], 2, s[6:7]
	s_mov_b64 s[6:7], 0
	v_add_nc_u64_e32 v[8:9], s[16:17], v[12:13]
	s_lshl_b64 s[16:17], s[4:5], 2
.LBB7_6:                                ; =>This Loop Header: Depth=1
                                        ;     Child Loop BB7_16 Depth 2
	s_lshl_b32 s28, s22, 2
	s_wait_dscnt 0x0
	s_add_co_i32 s24, s28, 0
	s_barrier_signal -1
	v_mov_b32_e32 v10, s24
	s_barrier_wait -1
	s_cmp_eq_u64 s[6:7], 0
	s_cselect_b32 s24, -1, 0
	ds_load_b32 v10, v10
	s_wait_dscnt 0x0
	v_cmp_eq_f32_e32 vcc_lo, 0, v10
	s_and_b32 s24, vcc_lo, s24
	s_delay_alu instid0(SALU_CYCLE_1)
	s_and_not1_b32 vcc_lo, exec_lo, s24
	s_cbranch_vccz .LBB7_8
; %bb.7:                                ;   in Loop: Header=BB7_6 Depth=1
	v_div_scale_f32 v11, null, v10, v10, 1.0
	s_delay_alu instid0(VALU_DEP_1)
	v_rcp_f32_e32 v12, v11
	v_nop
	v_xor_b32_e32 v11, 0x80000000, v11
	s_delay_alu instid0(TRANS32_DEP_1) | instid1(VALU_DEP_1)
	v_fma_f32 v13, v11, v12, 1.0
	s_delay_alu instid0(VALU_DEP_1) | instskip(SKIP_1) | instid1(VALU_DEP_1)
	v_fmac_f32_e32 v12, v13, v12
	v_div_scale_f32 v13, vcc_lo, 1.0, v10, 1.0
	v_mul_f32_e32 v17, v13, v12
	s_delay_alu instid0(VALU_DEP_1) | instskip(NEXT) | instid1(VALU_DEP_1)
	v_fma_f32 v18, v11, v17, v13
	v_fmac_f32_e32 v17, v18, v12
	s_delay_alu instid0(VALU_DEP_1) | instskip(NEXT) | instid1(VALU_DEP_1)
	v_fmac_f32_e32 v13, v11, v17
	v_div_fmas_f32 v11, v13, v12, v17
	s_delay_alu instid0(VALU_DEP_1)
	v_div_fixup_f32 v17, v11, v10, 1.0
	s_add_nc_u64 s[24:25], s[22:23], 1
	s_cbranch_execz .LBB7_9
	s_branch .LBB7_10
.LBB7_8:                                ;   in Loop: Header=BB7_6 Depth=1
                                        ; implicit-def: $vgpr17
	s_add_nc_u64 s[24:25], s[22:23], 1
.LBB7_9:                                ;   in Loop: Header=BB7_6 Depth=1
	v_mov_b32_e32 v17, v10
	s_add_nc_u64 s[6:7], s[22:23], 1
.LBB7_10:                               ;   in Loop: Header=BB7_6 Depth=1
	s_mov_b32 s29, exec_lo
	v_cmpx_ne_u64_e64 s[22:23], v[0:1]
	s_cbranch_execnz .LBB7_23
; %bb.11:                               ;   in Loop: Header=BB7_6 Depth=1
	s_or_b32 exec_lo, exec_lo, s29
	s_and_saveexec_b32 s29, s26
	s_cbranch_execz .LBB7_13
.LBB7_12:                               ;   in Loop: Header=BB7_6 Depth=1
	v_lshl_add_u64 v[10:11], s[22:23], 2, v[6:7]
	global_load_b32 v10, v[10:11], off
	s_wait_loadcnt 0x0
	ds_store_b32 v15, v10
.LBB7_13:                               ;   in Loop: Header=BB7_6 Depth=1
	s_wait_xcnt 0x0
	s_or_b32 exec_lo, exec_lo, s29
	v_cmp_lt_u64_e32 vcc_lo, s[22:23], v[0:1]
	s_wait_storecnt_dscnt 0x0
	s_barrier_signal -1
	s_barrier_wait -1
	s_and_b32 s30, s3, vcc_lo
	s_delay_alu instid0(SALU_CYCLE_1)
	s_and_saveexec_b32 s29, s30
	s_cbranch_execz .LBB7_19
; %bb.14:                               ;   in Loop: Header=BB7_6 Depth=1
	v_add_nc_u64_e32 v[10:11], s[22:23], v[2:3]
	s_mov_b32 s30, exec_lo
	s_delay_alu instid0(VALU_DEP_1)
	v_cmpx_gt_i64_e64 s[14:15], v[10:11]
	s_cbranch_execz .LBB7_17
; %bb.15:                               ;   in Loop: Header=BB7_6 Depth=1
	v_mov_b64_e32 v[12:13], v[8:9]
	v_mov_b32_e32 v18, v16
	s_mov_b32 s31, 0
.LBB7_16:                               ;   Parent Loop BB7_6 Depth=1
                                        ; =>  This Inner Loop Header: Depth=2
	global_load_b32 v19, v[12:13], off
	ds_load_b32 v20, v18
	v_add_nc_u64_e32 v[10:11], s[18:19], v[10:11]
	v_add_nc_u32_e32 v18, s27, v18
	s_delay_alu instid0(VALU_DEP_2)
	v_cmp_le_i64_e32 vcc_lo, s[14:15], v[10:11]
	s_or_b32 s31, vcc_lo, s31
	s_wait_loadcnt_dscnt 0x0
	v_fma_f32 v19, -v17, v20, v19
	global_store_b32 v[12:13], v19, off
	s_wait_xcnt 0x0
	v_add_nc_u64_e32 v[12:13], s[20:21], v[12:13]
	s_and_not1_b32 exec_lo, exec_lo, s31
	s_cbranch_execnz .LBB7_16
.LBB7_17:                               ;   in Loop: Header=BB7_6 Depth=1
	s_or_b32 exec_lo, exec_lo, s30
	v_cmp_lt_i64_e64 s30, s[22:23], s[12:13]
	s_and_b32 s30, s2, s30
	s_delay_alu instid0(SALU_CYCLE_1)
	s_and_b32 exec_lo, exec_lo, s30
	s_cbranch_execz .LBB7_19
; %bb.18:                               ;   in Loop: Header=BB7_6 Depth=1
	s_add_nc_u64 s[30:31], s[22:23], 1
	s_add_co_i32 s28, s11, s28
	s_mul_u64 s[30:31], s[30:31], s[4:5]
	v_mov_b32_e32 v13, s28
	v_lshl_add_u64 v[10:11], s[30:31], 2, v[4:5]
	ds_load_b32 v13, v13 offset:4
	global_load_b32 v12, v[10:11], off
	s_wait_loadcnt_dscnt 0x0
	v_fma_f32 v12, -v17, v13, v12
	global_store_b32 v[10:11], v12, off
	ds_store_b32 v14, v12
.LBB7_19:                               ;   in Loop: Header=BB7_6 Depth=1
	s_wait_xcnt 0x0
	s_or_b32 exec_lo, exec_lo, s29
	v_cmp_ge_u64_e32 vcc_lo, s[22:23], v[0:1]
	s_and_b32 s23, s2, vcc_lo
	s_delay_alu instid0(SALU_CYCLE_1)
	s_and_saveexec_b32 s22, s23
; %bb.20:                               ;   in Loop: Header=BB7_6 Depth=1
	ds_store_b32 v14, v3
; %bb.21:                               ;   in Loop: Header=BB7_6 Depth=1
	s_or_b32 exec_lo, exec_lo, s22
	v_add_nc_u64_e32 v[8:9], s[16:17], v[8:9]
	v_add_nc_u32_e32 v16, 4, v16
	s_cmp_eq_u64 s[24:25], s[14:15]
	s_cbranch_scc1 .LBB7_27
; %bb.22:                               ;   in Loop: Header=BB7_6 Depth=1
	s_mov_b64 s[22:23], s[24:25]
	s_branch .LBB7_6
.LBB7_23:                               ;   in Loop: Header=BB7_6 Depth=1
	ds_load_b32 v10, v14
	v_cmp_le_u64_e32 vcc_lo, s[22:23], v[0:1]
	s_and_b32 s30, s3, vcc_lo
	s_delay_alu instid0(SALU_CYCLE_1)
	s_and_b32 s31, s2, s30
	s_wait_dscnt 0x0
	v_mul_f32_e32 v17, v17, v10
	s_and_saveexec_b32 s30, s31
	s_cbranch_execz .LBB7_25
; %bb.24:                               ;   in Loop: Header=BB7_6 Depth=1
	s_mul_u64 s[34:35], s[22:23], s[4:5]
	s_delay_alu instid0(SALU_CYCLE_1)
	v_lshl_add_u64 v[10:11], s[34:35], 2, v[4:5]
	global_store_b32 v[10:11], v17, off
.LBB7_25:                               ;   in Loop: Header=BB7_6 Depth=1
	s_wait_xcnt 0x0
	s_or_b32 exec_lo, exec_lo, s30
	s_delay_alu instid0(SALU_CYCLE_1)
	s_or_b32 exec_lo, exec_lo, s29
	s_and_saveexec_b32 s29, s26
	s_cbranch_execnz .LBB7_12
	s_branch .LBB7_13
.LBB7_26:
	s_mov_b64 s[6:7], 0
.LBB7_27:
	s_mov_b32 s3, 0
	s_mov_b32 s4, exec_lo
	v_cmpx_eq_u32_e32 0, v0
	s_cbranch_execz .LBB7_30
; %bb.28:
	v_mov_b32_e32 v0, s10
	v_cmp_gt_i64_e64 s11, s[6:7], 0
	global_load_b64 v[0:1], v0, s[8:9] scale_offset
	s_wait_loadcnt 0x0
	v_readfirstlane_b32 s4, v0
	v_readfirstlane_b32 s5, v1
	s_cmp_eq_u64 s[4:5], 0
	s_cselect_b32 s4, -1, 0
	s_delay_alu instid0(SALU_CYCLE_1) | instskip(NEXT) | instid1(SALU_CYCLE_1)
	s_and_b32 s4, s4, s11
	s_and_b32 s2, s2, s4
	s_wait_xcnt 0x0
	s_and_b32 exec_lo, exec_lo, s2
	s_cbranch_execz .LBB7_30
; %bb.29:
	s_load_b64 s[0:1], s[0:1], 0x40
	v_mov_b32_e32 v2, 0
	s_lshl_b32 s2, s10, 3
	s_wait_kmcnt 0x0
	s_add_nc_u64 s[0:1], s[6:7], s[0:1]
	s_delay_alu instid0(SALU_CYCLE_1)
	v_mov_b64_e32 v[0:1], s[0:1]
	s_add_nc_u64 s[0:1], s[8:9], s[2:3]
	global_store_b64 v2, v[0:1], s[0:1]
.LBB7_30:
	s_endpgm
	.section	.rodata,"a",@progbits
	.p2align	6, 0x0
	.amdhsa_kernel _ZN9rocsolver6v33100L23getf2_npvt_panel_kernelIfllPfEEvT0_S3_T2_lS3_lPT1_S3_S3_
		.amdhsa_group_segment_fixed_size 0
		.amdhsa_private_segment_fixed_size 0
		.amdhsa_kernarg_size 328
		.amdhsa_user_sgpr_count 2
		.amdhsa_user_sgpr_dispatch_ptr 0
		.amdhsa_user_sgpr_queue_ptr 0
		.amdhsa_user_sgpr_kernarg_segment_ptr 1
		.amdhsa_user_sgpr_dispatch_id 0
		.amdhsa_user_sgpr_kernarg_preload_length 0
		.amdhsa_user_sgpr_kernarg_preload_offset 0
		.amdhsa_user_sgpr_private_segment_size 0
		.amdhsa_wavefront_size32 1
		.amdhsa_uses_dynamic_stack 0
		.amdhsa_enable_private_segment 0
		.amdhsa_system_sgpr_workgroup_id_x 1
		.amdhsa_system_sgpr_workgroup_id_y 0
		.amdhsa_system_sgpr_workgroup_id_z 1
		.amdhsa_system_sgpr_workgroup_info 0
		.amdhsa_system_vgpr_workitem_id 1
		.amdhsa_next_free_vgpr 21
		.amdhsa_next_free_sgpr 36
		.amdhsa_named_barrier_count 0
		.amdhsa_reserve_vcc 1
		.amdhsa_float_round_mode_32 0
		.amdhsa_float_round_mode_16_64 0
		.amdhsa_float_denorm_mode_32 3
		.amdhsa_float_denorm_mode_16_64 3
		.amdhsa_fp16_overflow 0
		.amdhsa_memory_ordered 1
		.amdhsa_forward_progress 1
		.amdhsa_inst_pref_size 10
		.amdhsa_round_robin_scheduling 0
		.amdhsa_exception_fp_ieee_invalid_op 0
		.amdhsa_exception_fp_denorm_src 0
		.amdhsa_exception_fp_ieee_div_zero 0
		.amdhsa_exception_fp_ieee_overflow 0
		.amdhsa_exception_fp_ieee_underflow 0
		.amdhsa_exception_fp_ieee_inexact 0
		.amdhsa_exception_int_div_zero 0
	.end_amdhsa_kernel
	.section	.text._ZN9rocsolver6v33100L23getf2_npvt_panel_kernelIfllPfEEvT0_S3_T2_lS3_lPT1_S3_S3_,"axG",@progbits,_ZN9rocsolver6v33100L23getf2_npvt_panel_kernelIfllPfEEvT0_S3_T2_lS3_lPT1_S3_S3_,comdat
.Lfunc_end7:
	.size	_ZN9rocsolver6v33100L23getf2_npvt_panel_kernelIfllPfEEvT0_S3_T2_lS3_lPT1_S3_S3_, .Lfunc_end7-_ZN9rocsolver6v33100L23getf2_npvt_panel_kernelIfllPfEEvT0_S3_T2_lS3_lPT1_S3_S3_
                                        ; -- End function
	.set _ZN9rocsolver6v33100L23getf2_npvt_panel_kernelIfllPfEEvT0_S3_T2_lS3_lPT1_S3_S3_.num_vgpr, 21
	.set _ZN9rocsolver6v33100L23getf2_npvt_panel_kernelIfllPfEEvT0_S3_T2_lS3_lPT1_S3_S3_.num_agpr, 0
	.set _ZN9rocsolver6v33100L23getf2_npvt_panel_kernelIfllPfEEvT0_S3_T2_lS3_lPT1_S3_S3_.numbered_sgpr, 36
	.set _ZN9rocsolver6v33100L23getf2_npvt_panel_kernelIfllPfEEvT0_S3_T2_lS3_lPT1_S3_S3_.num_named_barrier, 0
	.set _ZN9rocsolver6v33100L23getf2_npvt_panel_kernelIfllPfEEvT0_S3_T2_lS3_lPT1_S3_S3_.private_seg_size, 0
	.set _ZN9rocsolver6v33100L23getf2_npvt_panel_kernelIfllPfEEvT0_S3_T2_lS3_lPT1_S3_S3_.uses_vcc, 1
	.set _ZN9rocsolver6v33100L23getf2_npvt_panel_kernelIfllPfEEvT0_S3_T2_lS3_lPT1_S3_S3_.uses_flat_scratch, 0
	.set _ZN9rocsolver6v33100L23getf2_npvt_panel_kernelIfllPfEEvT0_S3_T2_lS3_lPT1_S3_S3_.has_dyn_sized_stack, 0
	.set _ZN9rocsolver6v33100L23getf2_npvt_panel_kernelIfllPfEEvT0_S3_T2_lS3_lPT1_S3_S3_.has_recursion, 0
	.set _ZN9rocsolver6v33100L23getf2_npvt_panel_kernelIfllPfEEvT0_S3_T2_lS3_lPT1_S3_S3_.has_indirect_call, 0
	.section	.AMDGPU.csdata,"",@progbits
; Kernel info:
; codeLenInByte = 1184
; TotalNumSgprs: 38
; NumVgprs: 21
; ScratchSize: 0
; MemoryBound: 0
; FloatMode: 240
; IeeeMode: 1
; LDSByteSize: 0 bytes/workgroup (compile time only)
; SGPRBlocks: 0
; VGPRBlocks: 1
; NumSGPRsForWavesPerEU: 38
; NumVGPRsForWavesPerEU: 21
; NamedBarCnt: 0
; Occupancy: 16
; WaveLimiterHint : 0
; COMPUTE_PGM_RSRC2:SCRATCH_EN: 0
; COMPUTE_PGM_RSRC2:USER_SGPR: 2
; COMPUTE_PGM_RSRC2:TRAP_HANDLER: 0
; COMPUTE_PGM_RSRC2:TGID_X_EN: 1
; COMPUTE_PGM_RSRC2:TGID_Y_EN: 0
; COMPUTE_PGM_RSRC2:TGID_Z_EN: 1
; COMPUTE_PGM_RSRC2:TIDIG_COMP_CNT: 1
	.section	.text._ZN9rocsolver6v33100L18getf2_panel_kernelIfllPKPfEEvT0_S5_T2_lS5_lPS5_llPT1_S5_S5_S7_l,"axG",@progbits,_ZN9rocsolver6v33100L18getf2_panel_kernelIfllPKPfEEvT0_S5_T2_lS5_lPS5_llPT1_S5_S5_S7_l,comdat
	.globl	_ZN9rocsolver6v33100L18getf2_panel_kernelIfllPKPfEEvT0_S5_T2_lS5_lPS5_llPT1_S5_S5_S7_l ; -- Begin function _ZN9rocsolver6v33100L18getf2_panel_kernelIfllPKPfEEvT0_S5_T2_lS5_lPS5_llPT1_S5_S5_S7_l
	.p2align	8
	.type	_ZN9rocsolver6v33100L18getf2_panel_kernelIfllPKPfEEvT0_S5_T2_lS5_lPS5_llPT1_S5_S5_S7_l,@function
_ZN9rocsolver6v33100L18getf2_panel_kernelIfllPKPfEEvT0_S5_T2_lS5_lPS5_llPT1_S5_S5_S7_l: ; @_ZN9rocsolver6v33100L18getf2_panel_kernelIfllPKPfEEvT0_S5_T2_lS5_lPS5_llPT1_S5_S5_S7_l
; %bb.0:
	s_load_b256 s[4:11], s[0:1], 0x0
	s_bfe_u32 s2, ttmp6, 0x40014
	s_lshr_b32 s3, ttmp7, 16
	s_add_co_i32 s2, s2, 1
	s_clause 0x1
	s_load_b128 s[16:19], s[0:1], 0x58
	s_load_b64 s[22:23], s[0:1], 0x20
	s_mul_i32 s2, s3, s2
	s_bfe_u32 s12, ttmp6, 0x40008
	s_getreg_b32 s13, hwreg(HW_REG_IB_STS2, 6, 4)
	s_add_co_i32 s12, s12, s2
	s_cmp_eq_u32 s13, 0
	s_mov_b32 s21, 0
	s_cselect_b32 s20, s3, s12
	s_mov_b64 s[24:25], 0
	s_clause 0x1
	s_load_b64 s[2:3], s[0:1], 0x68
	s_load_b32 s26, s[0:1], 0x7c
	s_wait_kmcnt 0x0
	s_load_b64 s[36:37], s[8:9], s20 offset:0x0 scale_offset
	s_cmp_eq_u64 s[18:19], 0
	s_cselect_b32 s33, -1, 0
	s_delay_alu instid0(SALU_CYCLE_1)
	s_and_b32 vcc_lo, exec_lo, s33
	s_cbranch_vccnz .LBB8_2
; %bb.1:
	s_mul_u64 s[2:3], s[2:3], s[20:21]
	s_delay_alu instid0(SALU_CYCLE_1) | instskip(NEXT) | instid1(SALU_CYCLE_1)
	s_lshl_b64 s[2:3], s[2:3], 3
	s_add_nc_u64 s[24:25], s[18:19], s[2:3]
.LBB8_2:
	s_and_b32 s3, s26, 0xffff
	v_bfe_u32 v4, v0, 10, 10
	s_wait_xcnt 0x0
	s_lshl_b32 s8, s3, 2
	s_lshl_b32 s9, s6, 2
	s_add_co_i32 s42, s8, 8
	v_and_b32_e32 v2, 0x3ff, v0
	v_mov_b32_e32 v3, 0
	v_cmp_eq_u32_e64 s2, 0, v4
	s_lshl_b64 s[28:29], s[10:11], 2
	s_add_co_i32 s43, s42, s9
	s_wait_kmcnt 0x0
	s_add_nc_u64 s[38:39], s[36:37], s[28:29]
	s_add_co_i32 s40, s43, s8
                                        ; implicit-def: $vgpr16
	s_and_saveexec_b32 s8, s2
	s_cbranch_execz .LBB8_6
; %bb.3:
	v_mov_b32_e32 v0, v3
	s_mov_b32 s9, exec_lo
	v_cmpx_gt_i64_e64 s[4:5], v[2:3]
	s_cbranch_execz .LBB8_5
; %bb.4:
	flat_load_b32 v0, v2, s[38:39] scale_offset
.LBB8_5:
	s_wait_xcnt 0x0
	s_or_b32 exec_lo, exec_lo, s9
	v_lshlrev_b32_e32 v1, 2, v2
	s_wait_loadcnt_dscnt 0x0
	v_and_b32_e32 v16, 0x7fffffff, v0
	v_lshl_add_u32 v6, v2, 3, s40
	s_delay_alu instid0(VALU_DEP_3)
	v_dual_add_nc_u32 v5, 8, v1 :: v_dual_add_nc_u32 v1, s43, v1
	ds_store_b32 v5, v0
	ds_store_b32 v1, v16
	ds_store_b64 v6, v[2:3]
.LBB8_6:
	s_or_b32 exec_lo, exec_lo, s8
	s_load_b256 s[8:15], s[0:1], 0x30
	s_wait_xcnt 0x0
	v_cmp_lt_i64_e64 s0, s[6:7], 1
	s_and_b32 vcc_lo, exec_lo, s0
	s_cbranch_vccnz .LBB8_50
; %bb.7:
	v_dual_mov_b32 v1, 0 :: v_dual_add_nc_u32 v0, 2, v4
	v_mul_u64_e32 v[10:11], s[22:23], v[2:3]
	v_dual_lshlrev_b32 v21, 2, v4 :: v_dual_bitop2_b32 v5, v2, v4 bitop3:0x54
	s_wait_kmcnt 0x0
	s_mul_u64 s[30:31], s[12:13], s[20:21]
	v_mul_u64_e32 v[6:7], s[22:23], v[0:1]
	s_lshr_b32 s18, s26, 16
	s_lshl_b64 s[34:35], s[10:11], 3
	s_lshr_b32 s10, s3, 1
	v_cmp_gt_i64_e64 s0, s[4:5], v[2:3]
	v_cmp_le_i64_e64 s1, s[4:5], v[2:3]
	s_lshl_b64 s[4:5], s[30:31], 3
	v_dual_lshlrev_b32 v8, 2, v2 :: v_dual_lshlrev_b32 v12, 3, v2
	s_cmp_gt_u32 s3, 1
	v_mov_b32_e32 v9, v1
	v_cmp_eq_u32_e64 s3, 0, v5
	s_delay_alu instid0(VALU_DEP_3)
	v_add_nc_u32_e32 v17, s43, v8
	v_dual_mov_b32 v13, v1 :: v_dual_add_nc_u32 v18, s40, v12
	v_cmp_gt_u64_e32 vcc_lo, s[6:7], v[2:3]
	v_dual_add_nc_u32 v19, 8, v8 :: v_dual_add_nc_u32 v20, s42, v8
	s_mov_b32 s19, 0
	v_add3_u32 v21, s42, v21, 8
	v_mov_b32_e32 v22, s40
	s_mul_u64 s[30:31], s[22:23], s[18:19]
	s_add_nc_u64 s[4:5], s[8:9], s[4:5]
	s_add_nc_u64 s[12:13], s[16:17], 1
	s_add_nc_u64 s[26:27], s[6:7], -1
	s_mov_b32 s11, s19
	s_cselect_b32 s21, -1, 0
	s_lshl_b64 s[30:31], s[30:31], 2
	s_add_nc_u64 s[34:35], s[4:5], s[34:35]
	s_and_b32 s44, s2, vcc_lo
	s_lshl_b32 s45, s18, 2
	s_mov_b64 s[8:9], 0
	v_lshl_add_u64 v[4:5], v[6:7], 2, s[28:29]
	v_add_nc_u64_e32 v[6:7], s[24:25], v[12:13]
	s_lshl_b64 s[28:29], s[22:23], 2
	s_delay_alu instid0(VALU_DEP_2) | instskip(SKIP_2) | instid1(VALU_DEP_3)
	v_add_nc_u64_e32 v[14:15], v[4:5], v[8:9]
	v_add_nc_u64_e32 v[4:5], s[38:39], v[8:9]
	v_lshl_add_u64 v[8:9], v[10:11], 2, s[38:39]
	v_add_nc_u64_e32 v[10:11], s[36:37], v[14:15]
	s_mov_b64 s[36:37], 0
.LBB8_8:                                ; =>This Loop Header: Depth=1
                                        ;     Child Loop BB8_14 Depth 2
                                        ;     Child Loop BB8_45 Depth 2
	v_mov_b64_e32 v[12:13], v[2:3]
	s_and_not1_b32 vcc_lo, exec_lo, s21
	s_mov_b64 s[38:39], s[10:11]
	s_wait_dscnt 0x0
	s_barrier_signal -1
	s_barrier_wait -1
	s_cbranch_vccz .LBB8_14
.LBB8_9:                                ;   in Loop: Header=BB8_8 Depth=1
	ds_load_b64 v[12:13], v22
	s_wait_dscnt 0x0
	v_lshlrev_b32_e32 v14, 2, v12
	v_readfirstlane_b32 s40, v12
	v_readfirstlane_b32 s41, v13
	s_delay_alu instid0(VALU_DEP_3)
	v_add_nc_u32_e32 v14, 8, v14
	ds_load_b32 v23, v14
	s_wait_dscnt 0x0
	v_cmp_neq_f32_e32 vcc_lo, 0, v23
	s_cbranch_vccz .LBB8_19
; %bb.10:                               ;   in Loop: Header=BB8_8 Depth=1
	v_div_scale_f32 v12, null, v23, v23, 1.0
	s_delay_alu instid0(VALU_DEP_1)
	v_rcp_f32_e32 v13, v12
	v_nop
	v_xor_b32_e32 v12, 0x80000000, v12
	s_delay_alu instid0(TRANS32_DEP_1) | instid1(VALU_DEP_1)
	v_fma_f32 v14, v12, v13, 1.0
	s_delay_alu instid0(VALU_DEP_1) | instskip(SKIP_1) | instid1(VALU_DEP_1)
	v_fmac_f32_e32 v13, v14, v13
	v_div_scale_f32 v14, vcc_lo, 1.0, v23, 1.0
	v_mul_f32_e32 v15, v14, v13
	s_delay_alu instid0(VALU_DEP_1) | instskip(NEXT) | instid1(VALU_DEP_1)
	v_fma_f32 v24, v12, v15, v14
	v_fmac_f32_e32 v15, v24, v13
	s_delay_alu instid0(VALU_DEP_1) | instskip(NEXT) | instid1(VALU_DEP_1)
	v_fmac_f32_e32 v14, v12, v15
	v_div_fmas_f32 v12, v14, v13, v15
	s_delay_alu instid0(VALU_DEP_1)
	v_div_fixup_f32 v12, v12, v23, 1.0
	s_add_nc_u64 s[38:39], s[36:37], 1
	s_cbranch_execnz .LBB8_20
.LBB8_11:                               ;   in Loop: Header=BB8_8 Depth=1
	s_add_nc_u64 s[4:5], s[36:37], 1
	s_cmp_eq_u64 s[8:9], 0
	s_mov_b64 s[40:41], s[36:37]
	s_cselect_b32 s9, s5, s9
	s_cselect_b32 s8, s4, s8
	s_and_saveexec_b32 s4, s3
	s_cbranch_execnz .LBB8_21
	s_branch .LBB8_22
.LBB8_12:                               ;   in Loop: Header=BB8_14 Depth=2
	s_or_b32 exec_lo, exec_lo, s4
.LBB8_13:                               ;   in Loop: Header=BB8_14 Depth=2
	s_delay_alu instid0(SALU_CYCLE_1)
	s_or_b32 exec_lo, exec_lo, s5
	v_cmp_lt_u64_e64 s4, s[38:39], 2
	s_lshr_b64 s[38:39], s[38:39], 1
	s_wait_dscnt 0x0
	s_barrier_signal -1
	s_barrier_wait -1
	s_and_b32 vcc_lo, exec_lo, s4
	s_cbranch_vccnz .LBB8_9
.LBB8_14:                               ;   Parent Loop BB8_8 Depth=1
                                        ; =>  This Inner Loop Header: Depth=2
	v_cmp_gt_u64_e32 vcc_lo, s[38:39], v[2:3]
	s_and_b32 s4, s2, vcc_lo
	s_delay_alu instid0(SALU_CYCLE_1)
	s_and_saveexec_b32 s5, s4
	s_cbranch_execz .LBB8_13
; %bb.15:                               ;   in Loop: Header=BB8_14 Depth=2
	v_lshl_add_u32 v14, s38, 2, v17
	s_mov_b32 s41, exec_lo
	ds_load_b32 v23, v14
	v_lshl_add_u32 v14, s38, 3, v18
	ds_load_b64 v[14:15], v14
	s_wait_dscnt 0x1
	v_cmp_lt_f32_e64 s40, v16, v23
	v_cmpx_nlt_f32_e32 v16, v23
	s_cbranch_execz .LBB8_17
; %bb.16:                               ;   in Loop: Header=BB8_14 Depth=2
	s_wait_dscnt 0x0
	v_cmp_gt_i64_e32 vcc_lo, v[12:13], v[14:15]
	v_cmp_eq_f32_e64 s4, v16, v23
	s_and_not1_b32 s40, s40, exec_lo
	s_and_b32 s4, s4, vcc_lo
	s_delay_alu instid0(SALU_CYCLE_1) | instskip(NEXT) | instid1(SALU_CYCLE_1)
	s_and_b32 s4, s4, exec_lo
	s_or_b32 s40, s40, s4
.LBB8_17:                               ;   in Loop: Header=BB8_14 Depth=2
	s_or_b32 exec_lo, exec_lo, s41
	s_and_saveexec_b32 s4, s40
	s_cbranch_execz .LBB8_12
; %bb.18:                               ;   in Loop: Header=BB8_14 Depth=2
	s_wait_dscnt 0x0
	v_mov_b64_e32 v[12:13], v[14:15]
	v_mov_b32_e32 v16, v23
	ds_store_b32 v17, v23
	ds_store_b64 v18, v[14:15]
	s_branch .LBB8_12
.LBB8_19:                               ;   in Loop: Header=BB8_8 Depth=1
                                        ; implicit-def: $vgpr12
	s_add_nc_u64 s[38:39], s[36:37], 1
	s_branch .LBB8_11
.LBB8_20:                               ;   in Loop: Header=BB8_8 Depth=1
	s_delay_alu instid0(VALU_DEP_1)
	v_mov_b32_e32 v23, v12
	s_and_saveexec_b32 s4, s3
	s_cbranch_execz .LBB8_22
.LBB8_21:                               ;   in Loop: Header=BB8_8 Depth=1
	s_add_nc_u64 s[46:47], s[12:13], s[40:41]
	s_delay_alu instid0(SALU_CYCLE_1) | instskip(SKIP_1) | instid1(SALU_CYCLE_1)
	v_mov_b64_e32 v[12:13], s[46:47]
	s_lshl_b64 s[46:47], s[36:37], 3
	s_add_nc_u64 s[46:47], s[34:35], s[46:47]
	global_store_b64 v1, v[12:13], s[46:47]
.LBB8_22:                               ;   in Loop: Header=BB8_8 Depth=1
	s_wait_xcnt 0x0
	s_or_b32 exec_lo, exec_lo, s4
	s_delay_alu instid0(SALU_CYCLE_1)
	s_mov_b32 s5, exec_lo
	v_cmp_eq_u64_e32 vcc_lo, s[40:41], v[2:3]
	v_cmpx_ne_u64_e64 s[40:41], v[2:3]
	s_cbranch_execz .LBB8_26
; %bb.23:                               ;   in Loop: Header=BB8_8 Depth=1
	ds_load_b32 v12, v19
	v_cmp_le_u64_e64 s4, s[36:37], v[2:3]
	s_and_b32 s4, s0, s4
	s_delay_alu instid0(SALU_CYCLE_1)
	s_and_b32 s46, s2, s4
	s_wait_dscnt 0x0
	v_mul_f32_e32 v23, v23, v12
	s_and_saveexec_b32 s4, s46
	s_cbranch_execz .LBB8_25
; %bb.24:                               ;   in Loop: Header=BB8_8 Depth=1
	s_mul_u64 s[46:47], s[36:37], s[22:23]
	s_delay_alu instid0(SALU_CYCLE_1)
	v_lshl_add_u64 v[12:13], s[46:47], 2, v[4:5]
	flat_store_b32 v[12:13], v23
.LBB8_25:                               ;   in Loop: Header=BB8_8 Depth=1
	s_wait_xcnt 0x0
	s_or_b32 exec_lo, exec_lo, s4
.LBB8_26:                               ;   in Loop: Header=BB8_8 Depth=1
	s_delay_alu instid0(SALU_CYCLE_1)
	s_or_b32 exec_lo, exec_lo, s5
	v_lshl_add_u64 v[12:13], s[40:41], 2, v[8:9]
	s_and_saveexec_b32 s5, s44
	s_cbranch_execz .LBB8_29
; %bb.27:                               ;   in Loop: Header=BB8_8 Depth=1
	flat_load_b32 v14, v[12:13]
	v_cmp_eq_u64_e64 s4, s[36:37], v[2:3]
	s_wait_loadcnt_dscnt 0x0
	ds_store_b32 v20, v14
	s_wait_xcnt 0x0
	s_and_b32 exec_lo, exec_lo, s4
; %bb.28:                               ;   in Loop: Header=BB8_8 Depth=1
	ds_store_b32 v1, v23
.LBB8_29:                               ;   in Loop: Header=BB8_8 Depth=1
	s_or_b32 exec_lo, exec_lo, s5
	s_cmp_lg_u64 s[40:41], s[36:37]
	s_wait_storecnt_dscnt 0x0
	s_cselect_b32 s4, -1, 0
	s_barrier_signal -1
	s_and_b32 s4, s44, s4
	s_barrier_wait -1
	s_and_saveexec_b32 s46, s4
	s_cbranch_execz .LBB8_37
; %bb.30:                               ;   in Loop: Header=BB8_8 Depth=1
	s_mov_b64 s[4:5], src_shared_base
	v_cmp_ne_u64_e64 s4, s[36:37], v[2:3]
	v_lshl_add_u64 v[14:15], s[36:37], 2, v[8:9]
	s_mov_b32 s47, exec_lo
	s_delay_alu instid0(VALU_DEP_1) | instskip(NEXT) | instid1(VALU_DEP_2)
	v_cndmask_b32_e64 v25, s5, v15, s4
	v_cndmask_b32_e64 v24, 0, v14, s4
	flat_load_b32 v24, v[24:25]
	s_wait_xcnt 0x0
	v_mov_b32_e32 v25, 0
	v_cmpx_lt_u64_e64 s[36:37], v[2:3]
	s_cbranch_execz .LBB8_32
; %bb.31:                               ;   in Loop: Header=BB8_8 Depth=1
	ds_load_b32 v25, v1
	ds_load_b32 v26, v20
	s_wait_dscnt 0x0
	v_mul_f32_e32 v25, v25, v26
.LBB8_32:                               ;   in Loop: Header=BB8_8 Depth=1
	s_or_b32 exec_lo, exec_lo, s47
	s_wait_loadcnt_dscnt 0x0
	s_delay_alu instid0(VALU_DEP_1)
	v_sub_f32_e32 v24, v24, v25
	s_add_nc_u64 s[48:49], s[36:37], 1
	s_mov_b32 s47, exec_lo
	flat_store_b32 v[12:13], v24
	s_wait_xcnt 0x0
	ds_load_b32 v12, v20
	s_wait_dscnt 0x0
	flat_store_b32 v[14:15], v12
	s_wait_xcnt 0x0
	v_cmpx_eq_u64_e64 s[48:49], v[2:3]
	s_cbranch_execz .LBB8_34
; %bb.33:                               ;   in Loop: Header=BB8_8 Depth=1
	s_lshl_b32 s5, s40, 2
	v_and_b32_e32 v16, 0x7fffffff, v24
	s_add_co_i32 s48, s5, 8
	s_add_co_i32 s5, s43, s5
	s_delay_alu instid0(SALU_CYCLE_1)
	v_dual_mov_b32 v12, s48 :: v_dual_mov_b32 v13, s5
	ds_store_b32 v12, v24
	ds_store_b32 v13, v16
.LBB8_34:                               ;   in Loop: Header=BB8_8 Depth=1
	s_or_b32 exec_lo, exec_lo, s47
	s_nor_b32 s5, s33, s4
	s_delay_alu instid0(SALU_CYCLE_1)
	s_and_saveexec_b32 s4, s5
	s_cbranch_execz .LBB8_36
; %bb.35:                               ;   in Loop: Header=BB8_8 Depth=1
	s_lshl_b64 s[40:41], s[40:41], 3
	s_delay_alu instid0(SALU_CYCLE_1)
	s_add_nc_u64 s[40:41], s[24:25], s[40:41]
	s_clause 0x1
	global_load_b64 v[12:13], v1, s[40:41]
	global_load_b64 v[14:15], v[6:7], off
	s_wait_loadcnt 0x1
	global_store_b64 v[6:7], v[12:13], off
	s_wait_loadcnt 0x0
	global_store_b64 v1, v[14:15], s[40:41]
.LBB8_36:                               ;   in Loop: Header=BB8_8 Depth=1
	s_wait_xcnt 0x0
	s_or_b32 exec_lo, exec_lo, s4
.LBB8_37:                               ;   in Loop: Header=BB8_8 Depth=1
	s_delay_alu instid0(SALU_CYCLE_1) | instskip(SKIP_2) | instid1(SALU_CYCLE_1)
	s_or_b32 exec_lo, exec_lo, s46
	v_cmp_ge_u64_e64 s4, s[36:37], v[2:3]
	s_or_b32 s5, s1, s4
	s_nor_b32 s40, s5, vcc_lo
	s_delay_alu instid0(SALU_CYCLE_1)
	s_and_saveexec_b32 s5, s40
	s_cbranch_execnz .LBB8_43
; %bb.38:                               ;   in Loop: Header=BB8_8 Depth=1
	s_or_b32 exec_lo, exec_lo, s5
	s_and_b32 s5, s2, s4
	s_delay_alu instid0(SALU_CYCLE_1)
	s_and_saveexec_b32 s4, s5
	s_cbranch_execnz .LBB8_49
.LBB8_39:                               ;   in Loop: Header=BB8_8 Depth=1
	s_or_b32 exec_lo, exec_lo, s4
	s_and_saveexec_b32 s4, s2
.LBB8_40:                               ;   in Loop: Header=BB8_8 Depth=1
	ds_store_b64 v18, v[2:3]
.LBB8_41:                               ;   in Loop: Header=BB8_8 Depth=1
	s_or_b32 exec_lo, exec_lo, s4
	v_add_nc_u64_e32 v[10:11], s[28:29], v[10:11]
	v_add_nc_u32_e32 v21, 4, v21
	s_cmp_eq_u64 s[38:39], s[6:7]
	s_cbranch_scc1 .LBB8_51
; %bb.42:                               ;   in Loop: Header=BB8_8 Depth=1
	s_mov_b64 s[36:37], s[38:39]
	s_branch .LBB8_8
.LBB8_43:                               ;   in Loop: Header=BB8_8 Depth=1
	v_add_nc_u64_e32 v[12:13], s[36:37], v[0:1]
	s_mov_b32 s40, exec_lo
	s_delay_alu instid0(VALU_DEP_1)
	v_cmpx_gt_i64_e64 s[6:7], v[12:13]
	s_cbranch_execz .LBB8_46
; %bb.44:                               ;   in Loop: Header=BB8_8 Depth=1
	v_mov_b64_e32 v[14:15], v[10:11]
	v_mov_b32_e32 v24, v21
	s_mov_b32 s41, 0
.LBB8_45:                               ;   Parent Loop BB8_8 Depth=1
                                        ; =>  This Inner Loop Header: Depth=2
	flat_load_b32 v25, v[14:15]
	ds_load_b32 v26, v24
	v_add_nc_u64_e32 v[12:13], s[18:19], v[12:13]
	v_add_nc_u32_e32 v24, s45, v24
	s_delay_alu instid0(VALU_DEP_2)
	v_cmp_le_i64_e32 vcc_lo, s[6:7], v[12:13]
	s_or_b32 s41, vcc_lo, s41
	s_wait_loadcnt_dscnt 0x0
	v_fma_f32 v25, -v23, v26, v25
	flat_store_b32 v[14:15], v25
	s_wait_xcnt 0x0
	v_add_nc_u64_e32 v[14:15], s[30:31], v[14:15]
	s_and_not1_b32 exec_lo, exec_lo, s41
	s_cbranch_execnz .LBB8_45
.LBB8_46:                               ;   in Loop: Header=BB8_8 Depth=1
	s_or_b32 exec_lo, exec_lo, s40
	v_cmp_lt_i64_e64 s40, s[36:37], s[26:27]
	s_and_b32 s41, s2, s40
	s_delay_alu instid0(SALU_CYCLE_1)
	s_and_saveexec_b32 s40, s41
	s_cbranch_execz .LBB8_48
; %bb.47:                               ;   in Loop: Header=BB8_8 Depth=1
	s_add_nc_u64 s[46:47], s[36:37], 1
	s_lshl_b32 s36, s36, 2
	s_mul_u64 s[46:47], s[46:47], s[22:23]
	s_add_co_i32 s36, s42, s36
	v_lshl_add_u64 v[12:13], s[46:47], 2, v[4:5]
	v_mov_b32_e32 v15, s36
	flat_load_b32 v14, v[12:13]
	ds_load_b32 v15, v15 offset:4
	s_wait_loadcnt_dscnt 0x0
	v_fma_f32 v14, -v23, v15, v14
	s_delay_alu instid0(VALU_DEP_1)
	v_and_b32_e32 v16, 0x7fffffff, v14
	flat_store_b32 v[12:13], v14
	ds_store_b32 v19, v14
	ds_store_b32 v17, v16
.LBB8_48:                               ;   in Loop: Header=BB8_8 Depth=1
	s_wait_xcnt 0x0
	s_or_b32 exec_lo, exec_lo, s40
	s_delay_alu instid0(SALU_CYCLE_1) | instskip(SKIP_1) | instid1(SALU_CYCLE_1)
	s_or_b32 exec_lo, exec_lo, s5
	s_and_b32 s5, s2, s4
	s_and_saveexec_b32 s4, s5
	s_cbranch_execz .LBB8_39
.LBB8_49:                               ;   in Loop: Header=BB8_8 Depth=1
	v_mov_b32_e32 v16, 0
	ds_store_b32 v19, v1
	ds_store_b32 v17, v1
	s_or_b32 exec_lo, exec_lo, s4
	s_and_saveexec_b32 s4, s2
	s_cbranch_execnz .LBB8_40
	s_branch .LBB8_41
.LBB8_50:
	s_wait_kmcnt 0x0
	s_mov_b64 s[8:9], 0
.LBB8_51:
	s_mov_b32 s1, 0
	s_mov_b32 s0, exec_lo
	v_cmpx_eq_u32_e32 0, v2
	s_cbranch_execz .LBB8_54
; %bb.52:
	v_mov_b32_e32 v0, s20
	v_cmp_gt_i64_e64 s0, s[8:9], 0
	global_load_b64 v[0:1], v0, s[14:15] scale_offset
	s_wait_loadcnt 0x0
	v_readfirstlane_b32 s4, v0
	v_readfirstlane_b32 s5, v1
	s_cmp_eq_u64 s[4:5], 0
	s_cselect_b32 s3, -1, 0
	s_delay_alu instid0(SALU_CYCLE_1) | instskip(NEXT) | instid1(SALU_CYCLE_1)
	s_and_b32 s0, s3, s0
	s_and_b32 s0, s2, s0
	s_wait_xcnt 0x0
	s_and_b32 exec_lo, exec_lo, s0
	s_cbranch_execz .LBB8_54
; %bb.53:
	s_add_nc_u64 s[2:3], s[8:9], s[16:17]
	v_mov_b32_e32 v2, 0
	v_mov_b64_e32 v[0:1], s[2:3]
	s_lshl_b32 s0, s20, 3
	s_delay_alu instid0(SALU_CYCLE_1)
	s_add_nc_u64 s[0:1], s[14:15], s[0:1]
	global_store_b64 v2, v[0:1], s[0:1]
.LBB8_54:
	s_endpgm
	.section	.rodata,"a",@progbits
	.p2align	6, 0x0
	.amdhsa_kernel _ZN9rocsolver6v33100L18getf2_panel_kernelIfllPKPfEEvT0_S5_T2_lS5_lPS5_llPT1_S5_S5_S7_l
		.amdhsa_group_segment_fixed_size 8
		.amdhsa_private_segment_fixed_size 0
		.amdhsa_kernarg_size 368
		.amdhsa_user_sgpr_count 2
		.amdhsa_user_sgpr_dispatch_ptr 0
		.amdhsa_user_sgpr_queue_ptr 0
		.amdhsa_user_sgpr_kernarg_segment_ptr 1
		.amdhsa_user_sgpr_dispatch_id 0
		.amdhsa_user_sgpr_kernarg_preload_length 0
		.amdhsa_user_sgpr_kernarg_preload_offset 0
		.amdhsa_user_sgpr_private_segment_size 0
		.amdhsa_wavefront_size32 1
		.amdhsa_uses_dynamic_stack 0
		.amdhsa_enable_private_segment 0
		.amdhsa_system_sgpr_workgroup_id_x 1
		.amdhsa_system_sgpr_workgroup_id_y 0
		.amdhsa_system_sgpr_workgroup_id_z 1
		.amdhsa_system_sgpr_workgroup_info 0
		.amdhsa_system_vgpr_workitem_id 1
		.amdhsa_next_free_vgpr 27
		.amdhsa_next_free_sgpr 50
		.amdhsa_named_barrier_count 0
		.amdhsa_reserve_vcc 1
		.amdhsa_float_round_mode_32 0
		.amdhsa_float_round_mode_16_64 0
		.amdhsa_float_denorm_mode_32 3
		.amdhsa_float_denorm_mode_16_64 3
		.amdhsa_fp16_overflow 0
		.amdhsa_memory_ordered 1
		.amdhsa_forward_progress 1
		.amdhsa_inst_pref_size 17
		.amdhsa_round_robin_scheduling 0
		.amdhsa_exception_fp_ieee_invalid_op 0
		.amdhsa_exception_fp_denorm_src 0
		.amdhsa_exception_fp_ieee_div_zero 0
		.amdhsa_exception_fp_ieee_overflow 0
		.amdhsa_exception_fp_ieee_underflow 0
		.amdhsa_exception_fp_ieee_inexact 0
		.amdhsa_exception_int_div_zero 0
	.end_amdhsa_kernel
	.section	.text._ZN9rocsolver6v33100L18getf2_panel_kernelIfllPKPfEEvT0_S5_T2_lS5_lPS5_llPT1_S5_S5_S7_l,"axG",@progbits,_ZN9rocsolver6v33100L18getf2_panel_kernelIfllPKPfEEvT0_S5_T2_lS5_lPS5_llPT1_S5_S5_S7_l,comdat
.Lfunc_end8:
	.size	_ZN9rocsolver6v33100L18getf2_panel_kernelIfllPKPfEEvT0_S5_T2_lS5_lPS5_llPT1_S5_S5_S7_l, .Lfunc_end8-_ZN9rocsolver6v33100L18getf2_panel_kernelIfllPKPfEEvT0_S5_T2_lS5_lPS5_llPT1_S5_S5_S7_l
                                        ; -- End function
	.set _ZN9rocsolver6v33100L18getf2_panel_kernelIfllPKPfEEvT0_S5_T2_lS5_lPS5_llPT1_S5_S5_S7_l.num_vgpr, 27
	.set _ZN9rocsolver6v33100L18getf2_panel_kernelIfllPKPfEEvT0_S5_T2_lS5_lPS5_llPT1_S5_S5_S7_l.num_agpr, 0
	.set _ZN9rocsolver6v33100L18getf2_panel_kernelIfllPKPfEEvT0_S5_T2_lS5_lPS5_llPT1_S5_S5_S7_l.numbered_sgpr, 50
	.set _ZN9rocsolver6v33100L18getf2_panel_kernelIfllPKPfEEvT0_S5_T2_lS5_lPS5_llPT1_S5_S5_S7_l.num_named_barrier, 0
	.set _ZN9rocsolver6v33100L18getf2_panel_kernelIfllPKPfEEvT0_S5_T2_lS5_lPS5_llPT1_S5_S5_S7_l.private_seg_size, 0
	.set _ZN9rocsolver6v33100L18getf2_panel_kernelIfllPKPfEEvT0_S5_T2_lS5_lPS5_llPT1_S5_S5_S7_l.uses_vcc, 1
	.set _ZN9rocsolver6v33100L18getf2_panel_kernelIfllPKPfEEvT0_S5_T2_lS5_lPS5_llPT1_S5_S5_S7_l.uses_flat_scratch, 0
	.set _ZN9rocsolver6v33100L18getf2_panel_kernelIfllPKPfEEvT0_S5_T2_lS5_lPS5_llPT1_S5_S5_S7_l.has_dyn_sized_stack, 0
	.set _ZN9rocsolver6v33100L18getf2_panel_kernelIfllPKPfEEvT0_S5_T2_lS5_lPS5_llPT1_S5_S5_S7_l.has_recursion, 0
	.set _ZN9rocsolver6v33100L18getf2_panel_kernelIfllPKPfEEvT0_S5_T2_lS5_lPS5_llPT1_S5_S5_S7_l.has_indirect_call, 0
	.section	.AMDGPU.csdata,"",@progbits
; Kernel info:
; codeLenInByte = 2164
; TotalNumSgprs: 52
; NumVgprs: 27
; ScratchSize: 0
; MemoryBound: 1
; FloatMode: 240
; IeeeMode: 1
; LDSByteSize: 8 bytes/workgroup (compile time only)
; SGPRBlocks: 0
; VGPRBlocks: 1
; NumSGPRsForWavesPerEU: 52
; NumVGPRsForWavesPerEU: 27
; NamedBarCnt: 0
; Occupancy: 16
; WaveLimiterHint : 1
; COMPUTE_PGM_RSRC2:SCRATCH_EN: 0
; COMPUTE_PGM_RSRC2:USER_SGPR: 2
; COMPUTE_PGM_RSRC2:TRAP_HANDLER: 0
; COMPUTE_PGM_RSRC2:TGID_X_EN: 1
; COMPUTE_PGM_RSRC2:TGID_Y_EN: 0
; COMPUTE_PGM_RSRC2:TGID_Z_EN: 1
; COMPUTE_PGM_RSRC2:TIDIG_COMP_CNT: 1
	.section	.text._ZN9rocsolver6v33100L23getf2_npvt_panel_kernelIfllPKPfEEvT0_S5_T2_lS5_lPT1_S5_S5_,"axG",@progbits,_ZN9rocsolver6v33100L23getf2_npvt_panel_kernelIfllPKPfEEvT0_S5_T2_lS5_lPT1_S5_S5_,comdat
	.globl	_ZN9rocsolver6v33100L23getf2_npvt_panel_kernelIfllPKPfEEvT0_S5_T2_lS5_lPT1_S5_S5_ ; -- Begin function _ZN9rocsolver6v33100L23getf2_npvt_panel_kernelIfllPKPfEEvT0_S5_T2_lS5_lPT1_S5_S5_
	.p2align	8
	.type	_ZN9rocsolver6v33100L23getf2_npvt_panel_kernelIfllPKPfEEvT0_S5_T2_lS5_lPT1_S5_S5_,@function
_ZN9rocsolver6v33100L23getf2_npvt_panel_kernelIfllPKPfEEvT0_S5_T2_lS5_lPT1_S5_S5_: ; @_ZN9rocsolver6v33100L23getf2_npvt_panel_kernelIfllPKPfEEvT0_S5_T2_lS5_lPT1_S5_S5_
; %bb.0:
	s_load_b256 s[4:11], s[0:1], 0x0
	s_bfe_u32 s2, ttmp6, 0x40014
	s_lshr_b32 s3, ttmp7, 16
	s_add_co_i32 s2, s2, 1
	s_bfe_u32 s12, ttmp6, 0x40008
	s_mul_i32 s2, s3, s2
	s_getreg_b32 s13, hwreg(HW_REG_IB_STS2, 6, 4)
	s_add_co_i32 s12, s12, s2
	s_cmp_eq_u32 s13, 0
	v_mov_b32_e32 v2, 0
	s_cselect_b32 s22, s3, s12
	v_bfe_u32 v4, v0, 10, 10
	v_and_b32_e32 v0, 0x3ff, v0
	s_wait_kmcnt 0x0
	s_load_b64 s[14:15], s[8:9], s22 offset:0x0 scale_offset
	s_clause 0x1
	s_load_b64 s[12:13], s[0:1], 0x20
	s_load_b32 s3, s[0:1], 0x54
	v_mov_b32_e32 v1, v2
	v_cmp_eq_u32_e64 s2, 0, v4
	s_lshl_b64 s[10:11], s[10:11], 2
	s_wait_kmcnt 0x0
	s_add_nc_u64 s[16:17], s[14:15], s[10:11]
	s_and_saveexec_b32 s8, s2
	s_cbranch_execz .LBB9_4
; %bb.1:
	s_mov_b32 s9, exec_lo
	v_cmpx_gt_i64_e64 s[4:5], v[0:1]
	s_cbranch_execz .LBB9_3
; %bb.2:
	flat_load_b32 v2, v0, s[16:17] scale_offset
.LBB9_3:
	s_wait_xcnt 0x0
	s_or_b32 exec_lo, exec_lo, s9
	v_lshl_add_u32 v3, v0, 2, 0
	s_wait_loadcnt_dscnt 0x0
	ds_store_b32 v3, v2
.LBB9_4:
	s_or_b32 exec_lo, exec_lo, s8
	v_cmp_lt_i64_e64 s8, s[6:7], 1
	s_and_b32 vcc_lo, exec_lo, s8
	s_cbranch_vccnz .LBB9_26
; %bb.5:
	v_dual_mov_b32 v3, 0 :: v_dual_add_nc_u32 v2, 2, v4
	v_mul_u64_e32 v[8:9], s[12:13], v[0:1]
	v_lshlrev_b32_e32 v10, 2, v0
	s_and_b32 s18, s3, 0xffff
	s_delay_alu instid0(VALU_DEP_3) | instskip(SKIP_1) | instid1(VALU_DEP_3)
	v_mov_b32_e32 v11, v3
	v_mul_u64_e32 v[6:7], s[12:13], v[2:3]
	v_dual_lshlrev_b32 v16, 2, v4 :: v_dual_add_nc_u32 v14, 0, v10
	v_cmp_gt_u64_e32 vcc_lo, s[6:7], v[0:1]
	s_lshl_b32 s18, s18, 2
	s_lshr_b32 s8, s3, 16
	v_cmp_gt_i64_e64 s3, s[4:5], v[0:1]
	s_add_co_i32 s23, s18, 0
	v_add_nc_u64_e32 v[4:5], s[16:17], v[10:11]
	s_mov_b32 s9, 0
	v_add_nc_u32_e32 v15, s23, v10
	v_add3_u32 v16, s23, v16, 8
	s_mul_u64 s[4:5], s[12:13], s[8:9]
	s_and_b32 s24, s2, vcc_lo
	s_lshl_b32 s25, s8, 2
	s_mov_b64 s[18:19], 0
	v_lshl_add_u64 v[6:7], v[6:7], 2, s[10:11]
	s_add_nc_u64 s[10:11], s[6:7], -1
	s_delay_alu instid0(VALU_DEP_1) | instskip(SKIP_3) | instid1(VALU_DEP_2)
	v_add_nc_u64_e32 v[12:13], v[6:7], v[10:11]
	v_lshl_add_u64 v[6:7], v[8:9], 2, s[16:17]
	s_lshl_b64 s[16:17], s[4:5], 2
	s_mov_b64 s[4:5], 0
	v_add_nc_u64_e32 v[8:9], s[14:15], v[12:13]
	s_lshl_b64 s[14:15], s[12:13], 2
.LBB9_6:                                ; =>This Loop Header: Depth=1
                                        ;     Child Loop BB9_16 Depth 2
	s_lshl_b32 s26, s18, 2
	s_wait_dscnt 0x0
	s_add_co_i32 s20, s26, 0
	s_barrier_signal -1
	v_mov_b32_e32 v10, s20
	s_barrier_wait -1
	s_cmp_eq_u64 s[4:5], 0
	s_cselect_b32 s20, -1, 0
	ds_load_b32 v10, v10
	s_wait_dscnt 0x0
	v_cmp_eq_f32_e32 vcc_lo, 0, v10
	s_and_b32 s20, vcc_lo, s20
	s_delay_alu instid0(SALU_CYCLE_1)
	s_and_not1_b32 vcc_lo, exec_lo, s20
	s_cbranch_vccz .LBB9_8
; %bb.7:                                ;   in Loop: Header=BB9_6 Depth=1
	v_div_scale_f32 v11, null, v10, v10, 1.0
	s_delay_alu instid0(VALU_DEP_1)
	v_rcp_f32_e32 v12, v11
	v_nop
	v_xor_b32_e32 v11, 0x80000000, v11
	s_delay_alu instid0(TRANS32_DEP_1) | instid1(VALU_DEP_1)
	v_fma_f32 v13, v11, v12, 1.0
	s_delay_alu instid0(VALU_DEP_1) | instskip(SKIP_1) | instid1(VALU_DEP_1)
	v_fmac_f32_e32 v12, v13, v12
	v_div_scale_f32 v13, vcc_lo, 1.0, v10, 1.0
	v_mul_f32_e32 v17, v13, v12
	s_delay_alu instid0(VALU_DEP_1) | instskip(NEXT) | instid1(VALU_DEP_1)
	v_fma_f32 v18, v11, v17, v13
	v_fmac_f32_e32 v17, v18, v12
	s_delay_alu instid0(VALU_DEP_1) | instskip(NEXT) | instid1(VALU_DEP_1)
	v_fmac_f32_e32 v13, v11, v17
	v_div_fmas_f32 v11, v13, v12, v17
	s_delay_alu instid0(VALU_DEP_1)
	v_div_fixup_f32 v17, v11, v10, 1.0
	s_add_nc_u64 s[20:21], s[18:19], 1
	s_cbranch_execz .LBB9_9
	s_branch .LBB9_10
.LBB9_8:                                ;   in Loop: Header=BB9_6 Depth=1
                                        ; implicit-def: $vgpr17
	s_add_nc_u64 s[20:21], s[18:19], 1
.LBB9_9:                                ;   in Loop: Header=BB9_6 Depth=1
	v_mov_b32_e32 v17, v10
	s_add_nc_u64 s[4:5], s[18:19], 1
.LBB9_10:                               ;   in Loop: Header=BB9_6 Depth=1
	s_mov_b32 s27, exec_lo
	v_cmpx_ne_u64_e64 s[18:19], v[0:1]
	s_cbranch_execnz .LBB9_23
; %bb.11:                               ;   in Loop: Header=BB9_6 Depth=1
	s_or_b32 exec_lo, exec_lo, s27
	s_and_saveexec_b32 s27, s24
	s_cbranch_execz .LBB9_13
.LBB9_12:                               ;   in Loop: Header=BB9_6 Depth=1
	v_lshl_add_u64 v[10:11], s[18:19], 2, v[6:7]
	flat_load_b32 v10, v[10:11]
	s_wait_loadcnt_dscnt 0x0
	ds_store_b32 v15, v10
.LBB9_13:                               ;   in Loop: Header=BB9_6 Depth=1
	s_wait_xcnt 0x0
	s_or_b32 exec_lo, exec_lo, s27
	v_cmp_lt_u64_e32 vcc_lo, s[18:19], v[0:1]
	s_wait_storecnt_dscnt 0x0
	s_barrier_signal -1
	s_barrier_wait -1
	s_and_b32 s28, s3, vcc_lo
	s_delay_alu instid0(SALU_CYCLE_1)
	s_and_saveexec_b32 s27, s28
	s_cbranch_execz .LBB9_19
; %bb.14:                               ;   in Loop: Header=BB9_6 Depth=1
	v_add_nc_u64_e32 v[10:11], s[18:19], v[2:3]
	s_mov_b32 s28, exec_lo
	s_delay_alu instid0(VALU_DEP_1)
	v_cmpx_gt_i64_e64 s[6:7], v[10:11]
	s_cbranch_execz .LBB9_17
; %bb.15:                               ;   in Loop: Header=BB9_6 Depth=1
	v_mov_b64_e32 v[12:13], v[8:9]
	v_mov_b32_e32 v18, v16
	s_mov_b32 s29, 0
.LBB9_16:                               ;   Parent Loop BB9_6 Depth=1
                                        ; =>  This Inner Loop Header: Depth=2
	flat_load_b32 v19, v[12:13]
	ds_load_b32 v20, v18
	v_add_nc_u64_e32 v[10:11], s[8:9], v[10:11]
	v_add_nc_u32_e32 v18, s25, v18
	s_delay_alu instid0(VALU_DEP_2)
	v_cmp_le_i64_e32 vcc_lo, s[6:7], v[10:11]
	s_or_b32 s29, vcc_lo, s29
	s_wait_loadcnt_dscnt 0x0
	v_fma_f32 v19, -v17, v20, v19
	flat_store_b32 v[12:13], v19
	s_wait_xcnt 0x0
	v_add_nc_u64_e32 v[12:13], s[16:17], v[12:13]
	s_and_not1_b32 exec_lo, exec_lo, s29
	s_cbranch_execnz .LBB9_16
.LBB9_17:                               ;   in Loop: Header=BB9_6 Depth=1
	s_or_b32 exec_lo, exec_lo, s28
	v_cmp_lt_i64_e64 s28, s[18:19], s[10:11]
	s_and_b32 s28, s2, s28
	s_delay_alu instid0(SALU_CYCLE_1)
	s_and_b32 exec_lo, exec_lo, s28
	s_cbranch_execz .LBB9_19
; %bb.18:                               ;   in Loop: Header=BB9_6 Depth=1
	s_add_nc_u64 s[28:29], s[18:19], 1
	s_add_co_i32 s26, s23, s26
	s_mul_u64 s[28:29], s[28:29], s[12:13]
	v_mov_b32_e32 v13, s26
	v_lshl_add_u64 v[10:11], s[28:29], 2, v[4:5]
	ds_load_b32 v13, v13 offset:4
	flat_load_b32 v12, v[10:11]
	s_wait_loadcnt_dscnt 0x0
	v_fma_f32 v12, -v17, v13, v12
	flat_store_b32 v[10:11], v12
	ds_store_b32 v14, v12
.LBB9_19:                               ;   in Loop: Header=BB9_6 Depth=1
	s_wait_xcnt 0x0
	s_or_b32 exec_lo, exec_lo, s27
	v_cmp_ge_u64_e32 vcc_lo, s[18:19], v[0:1]
	s_and_b32 s19, s2, vcc_lo
	s_delay_alu instid0(SALU_CYCLE_1)
	s_and_saveexec_b32 s18, s19
; %bb.20:                               ;   in Loop: Header=BB9_6 Depth=1
	ds_store_b32 v14, v3
; %bb.21:                               ;   in Loop: Header=BB9_6 Depth=1
	s_or_b32 exec_lo, exec_lo, s18
	v_add_nc_u64_e32 v[8:9], s[14:15], v[8:9]
	v_add_nc_u32_e32 v16, 4, v16
	s_cmp_eq_u64 s[20:21], s[6:7]
	s_cbranch_scc1 .LBB9_27
; %bb.22:                               ;   in Loop: Header=BB9_6 Depth=1
	s_mov_b64 s[18:19], s[20:21]
	s_branch .LBB9_6
.LBB9_23:                               ;   in Loop: Header=BB9_6 Depth=1
	ds_load_b32 v10, v14
	v_cmp_le_u64_e32 vcc_lo, s[18:19], v[0:1]
	s_and_b32 s28, s3, vcc_lo
	s_delay_alu instid0(SALU_CYCLE_1)
	s_and_b32 s29, s2, s28
	s_wait_dscnt 0x0
	v_mul_f32_e32 v17, v17, v10
	s_and_saveexec_b32 s28, s29
	s_cbranch_execz .LBB9_25
; %bb.24:                               ;   in Loop: Header=BB9_6 Depth=1
	s_mul_u64 s[30:31], s[18:19], s[12:13]
	s_delay_alu instid0(SALU_CYCLE_1)
	v_lshl_add_u64 v[10:11], s[30:31], 2, v[4:5]
	flat_store_b32 v[10:11], v17
.LBB9_25:                               ;   in Loop: Header=BB9_6 Depth=1
	s_wait_xcnt 0x0
	s_or_b32 exec_lo, exec_lo, s28
	s_delay_alu instid0(SALU_CYCLE_1)
	s_or_b32 exec_lo, exec_lo, s27
	s_and_saveexec_b32 s27, s24
	s_cbranch_execnz .LBB9_12
	s_branch .LBB9_13
.LBB9_26:
	s_mov_b64 s[4:5], 0
.LBB9_27:
	s_mov_b32 s3, 0
	s_mov_b32 s6, exec_lo
	v_cmpx_eq_u32_e32 0, v0
	s_cbranch_execz .LBB9_30
; %bb.28:
	s_load_b64 s[6:7], s[0:1], 0x30
	v_mov_b32_e32 v0, s22
	v_cmp_gt_i64_e64 s10, s[4:5], 0
	s_wait_kmcnt 0x0
	global_load_b64 v[0:1], v0, s[6:7] scale_offset
	s_wait_loadcnt 0x0
	v_readfirstlane_b32 s8, v0
	v_readfirstlane_b32 s9, v1
	s_cmp_eq_u64 s[8:9], 0
	s_cselect_b32 s8, -1, 0
	s_delay_alu instid0(SALU_CYCLE_1) | instskip(NEXT) | instid1(SALU_CYCLE_1)
	s_and_b32 s8, s8, s10
	s_and_b32 s2, s2, s8
	s_wait_xcnt 0x0
	s_and_b32 exec_lo, exec_lo, s2
	s_cbranch_execz .LBB9_30
; %bb.29:
	s_load_b64 s[0:1], s[0:1], 0x40
	v_mov_b32_e32 v2, 0
	s_lshl_b32 s2, s22, 3
	s_wait_kmcnt 0x0
	s_add_nc_u64 s[0:1], s[4:5], s[0:1]
	s_delay_alu instid0(SALU_CYCLE_1)
	v_mov_b64_e32 v[0:1], s[0:1]
	s_add_nc_u64 s[0:1], s[6:7], s[2:3]
	global_store_b64 v2, v[0:1], s[0:1]
.LBB9_30:
	s_endpgm
	.section	.rodata,"a",@progbits
	.p2align	6, 0x0
	.amdhsa_kernel _ZN9rocsolver6v33100L23getf2_npvt_panel_kernelIfllPKPfEEvT0_S5_T2_lS5_lPT1_S5_S5_
		.amdhsa_group_segment_fixed_size 0
		.amdhsa_private_segment_fixed_size 0
		.amdhsa_kernarg_size 328
		.amdhsa_user_sgpr_count 2
		.amdhsa_user_sgpr_dispatch_ptr 0
		.amdhsa_user_sgpr_queue_ptr 0
		.amdhsa_user_sgpr_kernarg_segment_ptr 1
		.amdhsa_user_sgpr_dispatch_id 0
		.amdhsa_user_sgpr_kernarg_preload_length 0
		.amdhsa_user_sgpr_kernarg_preload_offset 0
		.amdhsa_user_sgpr_private_segment_size 0
		.amdhsa_wavefront_size32 1
		.amdhsa_uses_dynamic_stack 0
		.amdhsa_enable_private_segment 0
		.amdhsa_system_sgpr_workgroup_id_x 1
		.amdhsa_system_sgpr_workgroup_id_y 0
		.amdhsa_system_sgpr_workgroup_id_z 1
		.amdhsa_system_sgpr_workgroup_info 0
		.amdhsa_system_vgpr_workitem_id 1
		.amdhsa_next_free_vgpr 21
		.amdhsa_next_free_sgpr 32
		.amdhsa_named_barrier_count 0
		.amdhsa_reserve_vcc 1
		.amdhsa_float_round_mode_32 0
		.amdhsa_float_round_mode_16_64 0
		.amdhsa_float_denorm_mode_32 3
		.amdhsa_float_denorm_mode_16_64 3
		.amdhsa_fp16_overflow 0
		.amdhsa_memory_ordered 1
		.amdhsa_forward_progress 1
		.amdhsa_inst_pref_size 10
		.amdhsa_round_robin_scheduling 0
		.amdhsa_exception_fp_ieee_invalid_op 0
		.amdhsa_exception_fp_denorm_src 0
		.amdhsa_exception_fp_ieee_div_zero 0
		.amdhsa_exception_fp_ieee_overflow 0
		.amdhsa_exception_fp_ieee_underflow 0
		.amdhsa_exception_fp_ieee_inexact 0
		.amdhsa_exception_int_div_zero 0
	.end_amdhsa_kernel
	.section	.text._ZN9rocsolver6v33100L23getf2_npvt_panel_kernelIfllPKPfEEvT0_S5_T2_lS5_lPT1_S5_S5_,"axG",@progbits,_ZN9rocsolver6v33100L23getf2_npvt_panel_kernelIfllPKPfEEvT0_S5_T2_lS5_lPT1_S5_S5_,comdat
.Lfunc_end9:
	.size	_ZN9rocsolver6v33100L23getf2_npvt_panel_kernelIfllPKPfEEvT0_S5_T2_lS5_lPT1_S5_S5_, .Lfunc_end9-_ZN9rocsolver6v33100L23getf2_npvt_panel_kernelIfllPKPfEEvT0_S5_T2_lS5_lPT1_S5_S5_
                                        ; -- End function
	.set _ZN9rocsolver6v33100L23getf2_npvt_panel_kernelIfllPKPfEEvT0_S5_T2_lS5_lPT1_S5_S5_.num_vgpr, 21
	.set _ZN9rocsolver6v33100L23getf2_npvt_panel_kernelIfllPKPfEEvT0_S5_T2_lS5_lPT1_S5_S5_.num_agpr, 0
	.set _ZN9rocsolver6v33100L23getf2_npvt_panel_kernelIfllPKPfEEvT0_S5_T2_lS5_lPT1_S5_S5_.numbered_sgpr, 32
	.set _ZN9rocsolver6v33100L23getf2_npvt_panel_kernelIfllPKPfEEvT0_S5_T2_lS5_lPT1_S5_S5_.num_named_barrier, 0
	.set _ZN9rocsolver6v33100L23getf2_npvt_panel_kernelIfllPKPfEEvT0_S5_T2_lS5_lPT1_S5_S5_.private_seg_size, 0
	.set _ZN9rocsolver6v33100L23getf2_npvt_panel_kernelIfllPKPfEEvT0_S5_T2_lS5_lPT1_S5_S5_.uses_vcc, 1
	.set _ZN9rocsolver6v33100L23getf2_npvt_panel_kernelIfllPKPfEEvT0_S5_T2_lS5_lPT1_S5_S5_.uses_flat_scratch, 0
	.set _ZN9rocsolver6v33100L23getf2_npvt_panel_kernelIfllPKPfEEvT0_S5_T2_lS5_lPT1_S5_S5_.has_dyn_sized_stack, 0
	.set _ZN9rocsolver6v33100L23getf2_npvt_panel_kernelIfllPKPfEEvT0_S5_T2_lS5_lPT1_S5_S5_.has_recursion, 0
	.set _ZN9rocsolver6v33100L23getf2_npvt_panel_kernelIfllPKPfEEvT0_S5_T2_lS5_lPT1_S5_S5_.has_indirect_call, 0
	.section	.AMDGPU.csdata,"",@progbits
; Kernel info:
; codeLenInByte = 1184
; TotalNumSgprs: 34
; NumVgprs: 21
; ScratchSize: 0
; MemoryBound: 0
; FloatMode: 240
; IeeeMode: 1
; LDSByteSize: 0 bytes/workgroup (compile time only)
; SGPRBlocks: 0
; VGPRBlocks: 1
; NumSGPRsForWavesPerEU: 34
; NumVGPRsForWavesPerEU: 21
; NamedBarCnt: 0
; Occupancy: 16
; WaveLimiterHint : 1
; COMPUTE_PGM_RSRC2:SCRATCH_EN: 0
; COMPUTE_PGM_RSRC2:USER_SGPR: 2
; COMPUTE_PGM_RSRC2:TRAP_HANDLER: 0
; COMPUTE_PGM_RSRC2:TGID_X_EN: 1
; COMPUTE_PGM_RSRC2:TGID_Y_EN: 0
; COMPUTE_PGM_RSRC2:TGID_Z_EN: 1
; COMPUTE_PGM_RSRC2:TIDIG_COMP_CNT: 1
	.section	.text._ZN9rocsolver6v33100L25getf2_scale_update_kernelIflPfEEvT0_S3_PT_T1_lS3_l,"axG",@progbits,_ZN9rocsolver6v33100L25getf2_scale_update_kernelIflPfEEvT0_S3_PT_T1_lS3_l,comdat
	.globl	_ZN9rocsolver6v33100L25getf2_scale_update_kernelIflPfEEvT0_S3_PT_T1_lS3_l ; -- Begin function _ZN9rocsolver6v33100L25getf2_scale_update_kernelIflPfEEvT0_S3_PT_T1_lS3_l
	.p2align	8
	.type	_ZN9rocsolver6v33100L25getf2_scale_update_kernelIflPfEEvT0_S3_PT_T1_lS3_l,@function
_ZN9rocsolver6v33100L25getf2_scale_update_kernelIflPfEEvT0_S3_PT_T1_lS3_l: ; @_ZN9rocsolver6v33100L25getf2_scale_update_kernelIflPfEEvT0_S3_PT_T1_lS3_l
; %bb.0:
	s_clause 0x2
	s_load_b32 s3, s[0:1], 0x44
	s_load_b256 s[12:19], s[0:1], 0x20
	s_load_b256 s[4:11], s[0:1], 0x0
	s_wait_xcnt 0x0
	s_bfe_u32 s0, ttmp6, 0x40014
	s_lshr_b32 s2, ttmp7, 16
	s_wait_kmcnt 0x0
	s_add_co_i32 s18, s0, 1
	s_bfe_u32 s1, ttmp6, 0x40008
	s_mul_i32 s18, s2, s18
	s_getreg_b32 s0, hwreg(HW_REG_IB_STS2, 6, 4)
	s_add_co_i32 s1, s1, s18
	s_cmp_eq_u32 s0, 0
	v_and_b32_e32 v2, 0x3ff, v0
	v_bfe_u32 v0, v0, 10, 10
	v_mov_b32_e32 v1, 0
	s_cselect_b32 s18, s2, s1
	s_mov_b32 s19, 0
	s_delay_alu instid0(VALU_DEP_1)
	v_mov_b32_e32 v5, v1
	s_lshr_b32 s2, s3, 16
	s_mul_u64 s[16:17], s[16:17], s[18:19]
	v_mad_u32_u24 v4, v2, s2, v0
	s_lshl_b64 s[16:17], s[16:17], 2
	s_lshl_b64 s[12:13], s[12:13], 2
	s_add_nc_u64 s[20:21], s[10:11], s[16:17]
	s_and_b32 s1, s3, 0xffff
	s_add_nc_u64 s[20:21], s[20:21], s[12:13]
	s_mov_b32 s3, exec_lo
	v_cmpx_gt_i64_e64 s[6:7], v[4:5]
	s_cbranch_execz .LBB10_2
; %bb.1:
	v_mul_u64_e32 v[6:7], s[14:15], v[4:5]
	s_lshl_b64 s[22:23], s[14:15], 2
	v_lshlrev_b32_e32 v4, 2, v4
	s_add_nc_u64 s[22:23], s[20:21], s[22:23]
	s_lshl_b32 s19, s1, 2
	s_delay_alu instid0(VALU_DEP_1) | instid1(SALU_CYCLE_1)
	v_add3_u32 v4, 0, s19, v4
	s_delay_alu instid0(VALU_DEP_3)
	v_lshl_add_u64 v[6:7], v[6:7], 2, s[22:23]
	global_load_b32 v3, v[6:7], off
	s_wait_loadcnt 0x0
	ds_store_b32 v4, v3
.LBB10_2:
	s_or_b32 exec_lo, exec_lo, s3
	s_bfe_u32 s3, ttmp6, 0x4000c
	s_and_b32 s19, ttmp6, 15
	s_add_co_i32 s3, s3, 1
	v_mov_b32_e32 v3, v1
	s_mul_i32 s3, ttmp9, s3
	s_delay_alu instid0(SALU_CYCLE_1) | instskip(SKIP_2) | instid1(SALU_CYCLE_1)
	s_add_co_i32 s19, s19, s3
	s_cmp_eq_u32 s0, 0
	s_cselect_b32 s0, ttmp9, s19
	v_mad_nc_u64_u32 v[4:5], s1, s0, v[2:3]
	v_cmp_eq_u32_e64 s0, 0, v0
	v_lshl_add_u32 v2, v2, 2, 0
	s_delay_alu instid0(VALU_DEP_3) | instskip(SKIP_1) | instid1(SALU_CYCLE_1)
	v_cmp_gt_i64_e32 vcc_lo, s[4:5], v[4:5]
	s_and_b32 s3, s0, vcc_lo
	s_and_saveexec_b32 s0, s3
	s_cbranch_execz .LBB10_4
; %bb.3:
	v_lshl_add_u64 v[6:7], v[4:5], 2, s[20:21]
	s_load_b32 s3, s[8:9], s18 offset:0x0 scale_offset
	global_load_b32 v3, v[6:7], off offset:4
	s_wait_loadcnt 0x0
	s_wait_kmcnt 0x0
	v_mul_f32_e32 v3, s3, v3
	ds_store_b32 v2, v3
	global_store_b32 v[6:7], v3, off offset:4
.LBB10_4:
	s_wait_xcnt 0x0
	s_or_b32 exec_lo, exec_lo, s0
	v_cmp_gt_i64_e64 s0, s[6:7], v[0:1]
	s_wait_storecnt_dscnt 0x0
	s_barrier_signal -1
	s_barrier_wait -1
	s_and_b32 s0, vcc_lo, s0
	s_delay_alu instid0(SALU_CYCLE_1)
	s_and_saveexec_b32 s3, s0
	s_cbranch_execz .LBB10_7
; %bb.5:
	v_lshlrev_b32_e32 v7, 2, v0
	s_add_nc_u64 s[4:5], s[12:13], s[16:17]
	ds_load_b32 v6, v2
	s_mov_b32 s3, 0
	v_add_nc_u32_e32 v3, 4, v7
	s_delay_alu instid0(VALU_DEP_1) | instskip(SKIP_4) | instid1(VALU_DEP_1)
	v_mad_nc_u64_u32 v[8:9], s14, v3, s[4:5]
	s_lshl_b32 s4, s1, 2
	s_mul_u64 s[0:1], s[14:15], s[2:3]
	s_mov_b32 s5, s3
	s_lshl_b64 s[0:1], s[0:1], 2
	v_mad_u32 v9, s15, v3, v9
	s_delay_alu instid0(VALU_DEP_1) | instskip(SKIP_2) | instid1(VALU_DEP_2)
	v_lshl_add_u64 v[2:3], v[4:5], 2, v[8:9]
	v_add3_u32 v4, 0, s4, v7
	s_lshl_b32 s4, s2, 2
	v_add_nc_u64_e32 v[2:3], s[10:11], v[2:3]
	s_delay_alu instid0(VALU_DEP_1)
	v_add_nc_u64_e32 v[2:3], 4, v[2:3]
.LBB10_6:                               ; =>This Inner Loop Header: Depth=1
	global_load_b32 v5, v[2:3], off
	ds_load_b32 v7, v4
	v_add_nc_u64_e32 v[0:1], s[2:3], v[0:1]
	v_add_nc_u32_e32 v4, s4, v4
	s_delay_alu instid0(VALU_DEP_2)
	v_cmp_le_i64_e32 vcc_lo, s[6:7], v[0:1]
	s_or_b32 s5, vcc_lo, s5
	s_wait_loadcnt_dscnt 0x0
	v_fma_f32 v5, -v6, v7, v5
	global_store_b32 v[2:3], v5, off
	s_wait_xcnt 0x0
	v_add_nc_u64_e32 v[2:3], s[0:1], v[2:3]
	s_and_not1_b32 exec_lo, exec_lo, s5
	s_cbranch_execnz .LBB10_6
.LBB10_7:
	s_endpgm
	.section	.rodata,"a",@progbits
	.p2align	6, 0x0
	.amdhsa_kernel _ZN9rocsolver6v33100L25getf2_scale_update_kernelIflPfEEvT0_S3_PT_T1_lS3_l
		.amdhsa_group_segment_fixed_size 0
		.amdhsa_private_segment_fixed_size 0
		.amdhsa_kernarg_size 312
		.amdhsa_user_sgpr_count 2
		.amdhsa_user_sgpr_dispatch_ptr 0
		.amdhsa_user_sgpr_queue_ptr 0
		.amdhsa_user_sgpr_kernarg_segment_ptr 1
		.amdhsa_user_sgpr_dispatch_id 0
		.amdhsa_user_sgpr_kernarg_preload_length 0
		.amdhsa_user_sgpr_kernarg_preload_offset 0
		.amdhsa_user_sgpr_private_segment_size 0
		.amdhsa_wavefront_size32 1
		.amdhsa_uses_dynamic_stack 0
		.amdhsa_enable_private_segment 0
		.amdhsa_system_sgpr_workgroup_id_x 1
		.amdhsa_system_sgpr_workgroup_id_y 0
		.amdhsa_system_sgpr_workgroup_id_z 1
		.amdhsa_system_sgpr_workgroup_info 0
		.amdhsa_system_vgpr_workitem_id 1
		.amdhsa_next_free_vgpr 10
		.amdhsa_next_free_sgpr 24
		.amdhsa_named_barrier_count 0
		.amdhsa_reserve_vcc 1
		.amdhsa_float_round_mode_32 0
		.amdhsa_float_round_mode_16_64 0
		.amdhsa_float_denorm_mode_32 3
		.amdhsa_float_denorm_mode_16_64 3
		.amdhsa_fp16_overflow 0
		.amdhsa_memory_ordered 1
		.amdhsa_forward_progress 1
		.amdhsa_inst_pref_size 5
		.amdhsa_round_robin_scheduling 0
		.amdhsa_exception_fp_ieee_invalid_op 0
		.amdhsa_exception_fp_denorm_src 0
		.amdhsa_exception_fp_ieee_div_zero 0
		.amdhsa_exception_fp_ieee_overflow 0
		.amdhsa_exception_fp_ieee_underflow 0
		.amdhsa_exception_fp_ieee_inexact 0
		.amdhsa_exception_int_div_zero 0
	.end_amdhsa_kernel
	.section	.text._ZN9rocsolver6v33100L25getf2_scale_update_kernelIflPfEEvT0_S3_PT_T1_lS3_l,"axG",@progbits,_ZN9rocsolver6v33100L25getf2_scale_update_kernelIflPfEEvT0_S3_PT_T1_lS3_l,comdat
.Lfunc_end10:
	.size	_ZN9rocsolver6v33100L25getf2_scale_update_kernelIflPfEEvT0_S3_PT_T1_lS3_l, .Lfunc_end10-_ZN9rocsolver6v33100L25getf2_scale_update_kernelIflPfEEvT0_S3_PT_T1_lS3_l
                                        ; -- End function
	.set _ZN9rocsolver6v33100L25getf2_scale_update_kernelIflPfEEvT0_S3_PT_T1_lS3_l.num_vgpr, 10
	.set _ZN9rocsolver6v33100L25getf2_scale_update_kernelIflPfEEvT0_S3_PT_T1_lS3_l.num_agpr, 0
	.set _ZN9rocsolver6v33100L25getf2_scale_update_kernelIflPfEEvT0_S3_PT_T1_lS3_l.numbered_sgpr, 24
	.set _ZN9rocsolver6v33100L25getf2_scale_update_kernelIflPfEEvT0_S3_PT_T1_lS3_l.num_named_barrier, 0
	.set _ZN9rocsolver6v33100L25getf2_scale_update_kernelIflPfEEvT0_S3_PT_T1_lS3_l.private_seg_size, 0
	.set _ZN9rocsolver6v33100L25getf2_scale_update_kernelIflPfEEvT0_S3_PT_T1_lS3_l.uses_vcc, 1
	.set _ZN9rocsolver6v33100L25getf2_scale_update_kernelIflPfEEvT0_S3_PT_T1_lS3_l.uses_flat_scratch, 0
	.set _ZN9rocsolver6v33100L25getf2_scale_update_kernelIflPfEEvT0_S3_PT_T1_lS3_l.has_dyn_sized_stack, 0
	.set _ZN9rocsolver6v33100L25getf2_scale_update_kernelIflPfEEvT0_S3_PT_T1_lS3_l.has_recursion, 0
	.set _ZN9rocsolver6v33100L25getf2_scale_update_kernelIflPfEEvT0_S3_PT_T1_lS3_l.has_indirect_call, 0
	.section	.AMDGPU.csdata,"",@progbits
; Kernel info:
; codeLenInByte = 608
; TotalNumSgprs: 26
; NumVgprs: 10
; ScratchSize: 0
; MemoryBound: 0
; FloatMode: 240
; IeeeMode: 1
; LDSByteSize: 0 bytes/workgroup (compile time only)
; SGPRBlocks: 0
; VGPRBlocks: 0
; NumSGPRsForWavesPerEU: 26
; NumVGPRsForWavesPerEU: 10
; NamedBarCnt: 0
; Occupancy: 16
; WaveLimiterHint : 0
; COMPUTE_PGM_RSRC2:SCRATCH_EN: 0
; COMPUTE_PGM_RSRC2:USER_SGPR: 2
; COMPUTE_PGM_RSRC2:TRAP_HANDLER: 0
; COMPUTE_PGM_RSRC2:TGID_X_EN: 1
; COMPUTE_PGM_RSRC2:TGID_Y_EN: 0
; COMPUTE_PGM_RSRC2:TGID_Z_EN: 1
; COMPUTE_PGM_RSRC2:TIDIG_COMP_CNT: 1
	.section	.text._ZN9rocsolver6v33100L25getf2_scale_update_kernelIflPKPfEEvT0_S5_PT_T1_lS5_l,"axG",@progbits,_ZN9rocsolver6v33100L25getf2_scale_update_kernelIflPKPfEEvT0_S5_PT_T1_lS5_l,comdat
	.globl	_ZN9rocsolver6v33100L25getf2_scale_update_kernelIflPKPfEEvT0_S5_PT_T1_lS5_l ; -- Begin function _ZN9rocsolver6v33100L25getf2_scale_update_kernelIflPKPfEEvT0_S5_PT_T1_lS5_l
	.p2align	8
	.type	_ZN9rocsolver6v33100L25getf2_scale_update_kernelIflPKPfEEvT0_S5_PT_T1_lS5_l,@function
_ZN9rocsolver6v33100L25getf2_scale_update_kernelIflPKPfEEvT0_S5_PT_T1_lS5_l: ; @_ZN9rocsolver6v33100L25getf2_scale_update_kernelIflPKPfEEvT0_S5_PT_T1_lS5_l
; %bb.0:
	s_clause 0x1
	s_load_b32 s2, s[0:1], 0x44
	s_load_b256 s[4:11], s[0:1], 0x0
	s_bfe_u32 s3, ttmp6, 0x40014
	s_lshr_b32 s13, ttmp7, 16
	s_add_co_i32 s3, s3, 1
	s_bfe_u32 s14, ttmp6, 0x40008
	s_mul_i32 s3, s13, s3
	s_getreg_b32 s19, hwreg(HW_REG_IB_STS2, 6, 4)
	s_add_co_i32 s14, s14, s3
	v_and_b32_e32 v2, 0x3ff, v0
	v_bfe_u32 v0, v0, 10, 10
	v_mov_b32_e32 v1, 0
	s_delay_alu instid0(VALU_DEP_1)
	v_mov_b32_e32 v5, v1
	s_wait_kmcnt 0x0
	s_lshr_b32 s12, s2, 16
	s_and_b32 s18, s2, 0xffff
	s_cmp_eq_u32 s19, 0
	s_load_b128 s[0:3], s[0:1], 0x20
	s_cselect_b32 s13, s13, s14
	v_mad_u32_u24 v4, v2, s12, v0
	s_load_b64 s[10:11], s[10:11], s13 offset:0x0 scale_offset
	s_wait_kmcnt 0x0
	s_lshl_b64 s[14:15], s[0:1], 2
	s_mov_b32 s0, exec_lo
	s_add_nc_u64 s[16:17], s[10:11], s[14:15]
	v_cmpx_gt_i64_e64 s[6:7], v[4:5]
	s_cbranch_execz .LBB11_2
; %bb.1:
	v_mul_u64_e32 v[6:7], s[2:3], v[4:5]
	s_lshl_b64 s[20:21], s[2:3], 2
	v_lshlrev_b32_e32 v4, 2, v4
	s_add_nc_u64 s[20:21], s[16:17], s[20:21]
	s_lshl_b32 s1, s18, 2
	s_delay_alu instid0(VALU_DEP_1) | instid1(SALU_CYCLE_1)
	v_add3_u32 v4, 0, s1, v4
	s_delay_alu instid0(VALU_DEP_3)
	v_lshl_add_u64 v[6:7], v[6:7], 2, s[20:21]
	flat_load_b32 v3, v[6:7]
	s_wait_loadcnt_dscnt 0x0
	ds_store_b32 v4, v3
.LBB11_2:
	s_or_b32 exec_lo, exec_lo, s0
	s_bfe_u32 s0, ttmp6, 0x4000c
	s_and_b32 s1, ttmp6, 15
	s_add_co_i32 s0, s0, 1
	v_mov_b32_e32 v3, v1
	s_mul_i32 s0, ttmp9, s0
	v_lshl_add_u32 v6, v2, 2, 0
	s_add_co_i32 s1, s1, s0
	s_cmp_eq_u32 s19, 0
	s_cselect_b32 s0, ttmp9, s1
	s_delay_alu instid0(SALU_CYCLE_1) | instskip(SKIP_1) | instid1(VALU_DEP_2)
	v_mad_nc_u64_u32 v[4:5], s18, s0, v[2:3]
	v_cmp_eq_u32_e64 s0, 0, v0
	v_cmp_gt_i64_e32 vcc_lo, s[4:5], v[4:5]
	s_and_b32 s1, s0, vcc_lo
	s_delay_alu instid0(SALU_CYCLE_1)
	s_and_saveexec_b32 s0, s1
	s_cbranch_execz .LBB11_4
; %bb.3:
	v_lshl_add_u64 v[2:3], v[4:5], 2, s[16:17]
	s_load_b32 s1, s[8:9], s13 offset:0x0 scale_offset
	flat_load_b32 v7, v[2:3] offset:4
	s_wait_loadcnt_dscnt 0x0
	s_wait_kmcnt 0x0
	v_mul_f32_e32 v7, s1, v7
	ds_store_b32 v6, v7
	flat_store_b32 v[2:3], v7 offset:4
.LBB11_4:
	s_wait_xcnt 0x0
	s_or_b32 exec_lo, exec_lo, s0
	v_cmp_gt_i64_e64 s0, s[6:7], v[0:1]
	s_wait_storecnt_dscnt 0x0
	s_barrier_signal -1
	s_barrier_wait -1
	s_and_b32 s0, vcc_lo, s0
	s_delay_alu instid0(SALU_CYCLE_1)
	s_and_saveexec_b32 s1, s0
	s_cbranch_execz .LBB11_7
; %bb.5:
	v_lshlrev_b32_e32 v7, 2, v0
	s_lshl_b32 s4, s18, 2
	s_mov_b32 s13, 0
	s_delay_alu instid0(SALU_CYCLE_1) | instskip(NEXT) | instid1(VALU_DEP_1)
	s_mul_u64 s[0:1], s[2:3], s[12:13]
	v_add_nc_u32_e32 v8, 4, v7
	s_lshl_b64 s[0:1], s[0:1], 2
	s_delay_alu instid0(VALU_DEP_1) | instskip(SKIP_1) | instid1(VALU_DEP_1)
	v_mad_nc_u64_u32 v[2:3], s2, v8, s[14:15]
	s_lshl_b32 s2, s12, 2
	v_mad_u32 v3, s3, v8, v3
	s_mov_b32 s3, s13
	s_delay_alu instid0(VALU_DEP_1) | instskip(SKIP_1) | instid1(VALU_DEP_2)
	v_lshl_add_u64 v[2:3], v[4:5], 2, v[2:3]
	v_add3_u32 v4, 0, s4, v7
	v_add_nc_u64_e32 v[2:3], s[10:11], v[2:3]
	s_delay_alu instid0(VALU_DEP_1)
	v_add_nc_u64_e32 v[2:3], 4, v[2:3]
.LBB11_6:                               ; =>This Inner Loop Header: Depth=1
	flat_load_b32 v5, v[2:3]
	ds_load_b32 v7, v6
	ds_load_b32 v8, v4
	v_add_nc_u64_e32 v[0:1], s[12:13], v[0:1]
	v_add_nc_u32_e32 v4, s2, v4
	s_delay_alu instid0(VALU_DEP_2)
	v_cmp_le_i64_e32 vcc_lo, s[6:7], v[0:1]
	s_or_b32 s3, vcc_lo, s3
	s_wait_loadcnt_dscnt 0x0
	v_fma_f32 v5, -v7, v8, v5
	flat_store_b32 v[2:3], v5
	s_wait_xcnt 0x0
	v_add_nc_u64_e32 v[2:3], s[0:1], v[2:3]
	s_and_not1_b32 exec_lo, exec_lo, s3
	s_cbranch_execnz .LBB11_6
.LBB11_7:
	s_endpgm
	.section	.rodata,"a",@progbits
	.p2align	6, 0x0
	.amdhsa_kernel _ZN9rocsolver6v33100L25getf2_scale_update_kernelIflPKPfEEvT0_S5_PT_T1_lS5_l
		.amdhsa_group_segment_fixed_size 0
		.amdhsa_private_segment_fixed_size 0
		.amdhsa_kernarg_size 312
		.amdhsa_user_sgpr_count 2
		.amdhsa_user_sgpr_dispatch_ptr 0
		.amdhsa_user_sgpr_queue_ptr 0
		.amdhsa_user_sgpr_kernarg_segment_ptr 1
		.amdhsa_user_sgpr_dispatch_id 0
		.amdhsa_user_sgpr_kernarg_preload_length 0
		.amdhsa_user_sgpr_kernarg_preload_offset 0
		.amdhsa_user_sgpr_private_segment_size 0
		.amdhsa_wavefront_size32 1
		.amdhsa_uses_dynamic_stack 0
		.amdhsa_enable_private_segment 0
		.amdhsa_system_sgpr_workgroup_id_x 1
		.amdhsa_system_sgpr_workgroup_id_y 0
		.amdhsa_system_sgpr_workgroup_id_z 1
		.amdhsa_system_sgpr_workgroup_info 0
		.amdhsa_system_vgpr_workitem_id 1
		.amdhsa_next_free_vgpr 9
		.amdhsa_next_free_sgpr 22
		.amdhsa_named_barrier_count 0
		.amdhsa_reserve_vcc 1
		.amdhsa_float_round_mode_32 0
		.amdhsa_float_round_mode_16_64 0
		.amdhsa_float_denorm_mode_32 3
		.amdhsa_float_denorm_mode_16_64 3
		.amdhsa_fp16_overflow 0
		.amdhsa_memory_ordered 1
		.amdhsa_forward_progress 1
		.amdhsa_inst_pref_size 5
		.amdhsa_round_robin_scheduling 0
		.amdhsa_exception_fp_ieee_invalid_op 0
		.amdhsa_exception_fp_denorm_src 0
		.amdhsa_exception_fp_ieee_div_zero 0
		.amdhsa_exception_fp_ieee_overflow 0
		.amdhsa_exception_fp_ieee_underflow 0
		.amdhsa_exception_fp_ieee_inexact 0
		.amdhsa_exception_int_div_zero 0
	.end_amdhsa_kernel
	.section	.text._ZN9rocsolver6v33100L25getf2_scale_update_kernelIflPKPfEEvT0_S5_PT_T1_lS5_l,"axG",@progbits,_ZN9rocsolver6v33100L25getf2_scale_update_kernelIflPKPfEEvT0_S5_PT_T1_lS5_l,comdat
.Lfunc_end11:
	.size	_ZN9rocsolver6v33100L25getf2_scale_update_kernelIflPKPfEEvT0_S5_PT_T1_lS5_l, .Lfunc_end11-_ZN9rocsolver6v33100L25getf2_scale_update_kernelIflPKPfEEvT0_S5_PT_T1_lS5_l
                                        ; -- End function
	.set _ZN9rocsolver6v33100L25getf2_scale_update_kernelIflPKPfEEvT0_S5_PT_T1_lS5_l.num_vgpr, 9
	.set _ZN9rocsolver6v33100L25getf2_scale_update_kernelIflPKPfEEvT0_S5_PT_T1_lS5_l.num_agpr, 0
	.set _ZN9rocsolver6v33100L25getf2_scale_update_kernelIflPKPfEEvT0_S5_PT_T1_lS5_l.numbered_sgpr, 22
	.set _ZN9rocsolver6v33100L25getf2_scale_update_kernelIflPKPfEEvT0_S5_PT_T1_lS5_l.num_named_barrier, 0
	.set _ZN9rocsolver6v33100L25getf2_scale_update_kernelIflPKPfEEvT0_S5_PT_T1_lS5_l.private_seg_size, 0
	.set _ZN9rocsolver6v33100L25getf2_scale_update_kernelIflPKPfEEvT0_S5_PT_T1_lS5_l.uses_vcc, 1
	.set _ZN9rocsolver6v33100L25getf2_scale_update_kernelIflPKPfEEvT0_S5_PT_T1_lS5_l.uses_flat_scratch, 0
	.set _ZN9rocsolver6v33100L25getf2_scale_update_kernelIflPKPfEEvT0_S5_PT_T1_lS5_l.has_dyn_sized_stack, 0
	.set _ZN9rocsolver6v33100L25getf2_scale_update_kernelIflPKPfEEvT0_S5_PT_T1_lS5_l.has_recursion, 0
	.set _ZN9rocsolver6v33100L25getf2_scale_update_kernelIflPKPfEEvT0_S5_PT_T1_lS5_l.has_indirect_call, 0
	.section	.AMDGPU.csdata,"",@progbits
; Kernel info:
; codeLenInByte = 600
; TotalNumSgprs: 24
; NumVgprs: 9
; ScratchSize: 0
; MemoryBound: 0
; FloatMode: 240
; IeeeMode: 1
; LDSByteSize: 0 bytes/workgroup (compile time only)
; SGPRBlocks: 0
; VGPRBlocks: 0
; NumSGPRsForWavesPerEU: 24
; NumVGPRsForWavesPerEU: 9
; NamedBarCnt: 0
; Occupancy: 16
; WaveLimiterHint : 1
; COMPUTE_PGM_RSRC2:SCRATCH_EN: 0
; COMPUTE_PGM_RSRC2:USER_SGPR: 2
; COMPUTE_PGM_RSRC2:TRAP_HANDLER: 0
; COMPUTE_PGM_RSRC2:TGID_X_EN: 1
; COMPUTE_PGM_RSRC2:TGID_Y_EN: 0
; COMPUTE_PGM_RSRC2:TGID_Z_EN: 1
; COMPUTE_PGM_RSRC2:TIDIG_COMP_CNT: 1
	.section	.AMDGPU.gpr_maximums,"",@progbits
	.set amdgpu.max_num_vgpr, 0
	.set amdgpu.max_num_agpr, 0
	.set amdgpu.max_num_sgpr, 0
	.section	.AMDGPU.csdata,"",@progbits
	.type	__hip_cuid_f7aa7a73374edf2,@object ; @__hip_cuid_f7aa7a73374edf2
	.section	.bss,"aw",@nobits
	.globl	__hip_cuid_f7aa7a73374edf2
__hip_cuid_f7aa7a73374edf2:
	.byte	0                               ; 0x0
	.size	__hip_cuid_f7aa7a73374edf2, 1

	.ident	"AMD clang version 22.0.0git (https://github.com/RadeonOpenCompute/llvm-project roc-7.2.4 26084 f58b06dce1f9c15707c5f808fd002e18c2accf7e)"
	.section	".note.GNU-stack","",@progbits
	.addrsig
	.addrsig_sym __hip_cuid_f7aa7a73374edf2
	.amdgpu_metadata
---
amdhsa.kernels:
  - .args:
      - .offset:         0
        .size:           4
        .value_kind:     by_value
      - .offset:         4
        .size:           4
        .value_kind:     by_value
      - .address_space:  global
        .offset:         8
        .size:           8
        .value_kind:     global_buffer
      - .offset:         16
        .size:           8
        .value_kind:     by_value
      - .offset:         24
        .size:           4
        .value_kind:     by_value
      - .offset:         32
        .size:           8
        .value_kind:     by_value
      - .address_space:  global
        .offset:         40
        .size:           8
        .value_kind:     global_buffer
      - .offset:         48
        .size:           8
        .value_kind:     by_value
      - .offset:         56
        .size:           8
        .value_kind:     by_value
      - .address_space:  global
        .offset:         64
        .size:           8
        .value_kind:     global_buffer
      - .offset:         72
        .size:           4
        .value_kind:     by_value
      - .offset:         76
        .size:           4
        .value_kind:     by_value
      - .address_space:  global
        .offset:         80
        .size:           8
        .value_kind:     global_buffer
      - .offset:         88
        .size:           8
        .value_kind:     by_value
      - .offset:         96
        .size:           4
        .value_kind:     hidden_block_count_x
      - .offset:         100
        .size:           4
        .value_kind:     hidden_block_count_y
      - .offset:         104
        .size:           4
        .value_kind:     hidden_block_count_z
      - .offset:         108
        .size:           2
        .value_kind:     hidden_group_size_x
      - .offset:         110
        .size:           2
        .value_kind:     hidden_group_size_y
      - .offset:         112
        .size:           2
        .value_kind:     hidden_group_size_z
      - .offset:         114
        .size:           2
        .value_kind:     hidden_remainder_x
      - .offset:         116
        .size:           2
        .value_kind:     hidden_remainder_y
      - .offset:         118
        .size:           2
        .value_kind:     hidden_remainder_z
      - .offset:         136
        .size:           8
        .value_kind:     hidden_global_offset_x
      - .offset:         144
        .size:           8
        .value_kind:     hidden_global_offset_y
      - .offset:         152
        .size:           8
        .value_kind:     hidden_global_offset_z
      - .offset:         160
        .size:           2
        .value_kind:     hidden_grid_dims
      - .offset:         216
        .size:           4
        .value_kind:     hidden_dynamic_lds_size
    .group_segment_fixed_size: 8
    .kernarg_segment_align: 8
    .kernarg_segment_size: 352
    .language:       OpenCL C
    .language_version:
      - 2
      - 0
    .max_flat_workgroup_size: 1024
    .name:           _ZN9rocsolver6v33100L18getf2_panel_kernelIfiiPfEEvT0_S3_T2_lS3_lPS3_llPT1_S3_S3_S5_l
    .private_segment_fixed_size: 0
    .sgpr_count:     37
    .sgpr_spill_count: 0
    .symbol:         _ZN9rocsolver6v33100L18getf2_panel_kernelIfiiPfEEvT0_S3_T2_lS3_lPS3_llPT1_S3_S3_S5_l.kd
    .uniform_work_group_size: 1
    .uses_dynamic_stack: false
    .vgpr_count:     22
    .vgpr_spill_count: 0
    .wavefront_size: 32
  - .args:
      - .offset:         0
        .size:           4
        .value_kind:     by_value
      - .offset:         4
        .size:           4
        .value_kind:     by_value
      - .address_space:  global
        .offset:         8
        .size:           8
        .value_kind:     global_buffer
      - .offset:         16
        .size:           8
        .value_kind:     by_value
      - .offset:         24
        .size:           4
        .value_kind:     by_value
      - .offset:         32
        .size:           8
        .value_kind:     by_value
      - .address_space:  global
        .offset:         40
        .size:           8
        .value_kind:     global_buffer
      - .offset:         48
        .size:           4
        .value_kind:     by_value
      - .offset:         52
        .size:           4
        .value_kind:     by_value
      - .offset:         56
        .size:           4
        .value_kind:     hidden_block_count_x
      - .offset:         60
        .size:           4
        .value_kind:     hidden_block_count_y
      - .offset:         64
        .size:           4
        .value_kind:     hidden_block_count_z
      - .offset:         68
        .size:           2
        .value_kind:     hidden_group_size_x
      - .offset:         70
        .size:           2
        .value_kind:     hidden_group_size_y
      - .offset:         72
        .size:           2
        .value_kind:     hidden_group_size_z
      - .offset:         74
        .size:           2
        .value_kind:     hidden_remainder_x
      - .offset:         76
        .size:           2
        .value_kind:     hidden_remainder_y
      - .offset:         78
        .size:           2
        .value_kind:     hidden_remainder_z
      - .offset:         96
        .size:           8
        .value_kind:     hidden_global_offset_x
      - .offset:         104
        .size:           8
        .value_kind:     hidden_global_offset_y
      - .offset:         112
        .size:           8
        .value_kind:     hidden_global_offset_z
      - .offset:         120
        .size:           2
        .value_kind:     hidden_grid_dims
      - .offset:         176
        .size:           4
        .value_kind:     hidden_dynamic_lds_size
    .group_segment_fixed_size: 0
    .kernarg_segment_align: 8
    .kernarg_segment_size: 312
    .language:       OpenCL C
    .language_version:
      - 2
      - 0
    .max_flat_workgroup_size: 1024
    .name:           _ZN9rocsolver6v33100L23getf2_npvt_panel_kernelIfiiPfEEvT0_S3_T2_lS3_lPT1_S3_S3_
    .private_segment_fixed_size: 0
    .sgpr_count:     25
    .sgpr_spill_count: 0
    .symbol:         _ZN9rocsolver6v33100L23getf2_npvt_panel_kernelIfiiPfEEvT0_S3_T2_lS3_lPT1_S3_S3_.kd
    .uniform_work_group_size: 1
    .uses_dynamic_stack: false
    .vgpr_count:     15
    .vgpr_spill_count: 0
    .wavefront_size: 32
  - .args:
      - .offset:         0
        .size:           4
        .value_kind:     by_value
      - .offset:         4
        .size:           4
        .value_kind:     by_value
      - .address_space:  global
        .offset:         8
        .size:           8
        .value_kind:     global_buffer
      - .offset:         16
        .size:           8
        .value_kind:     by_value
      - .offset:         24
        .size:           4
        .value_kind:     by_value
      - .offset:         32
        .size:           8
        .value_kind:     by_value
      - .address_space:  global
        .offset:         40
        .size:           8
        .value_kind:     global_buffer
      - .offset:         48
        .size:           8
        .value_kind:     by_value
      - .offset:         56
        .size:           8
        .value_kind:     by_value
      - .address_space:  global
        .offset:         64
        .size:           8
        .value_kind:     global_buffer
      - .offset:         72
        .size:           4
        .value_kind:     by_value
      - .offset:         76
        .size:           4
        .value_kind:     by_value
      - .address_space:  global
        .offset:         80
        .size:           8
        .value_kind:     global_buffer
      - .offset:         88
        .size:           8
        .value_kind:     by_value
      - .offset:         96
        .size:           4
        .value_kind:     hidden_block_count_x
      - .offset:         100
        .size:           4
        .value_kind:     hidden_block_count_y
      - .offset:         104
        .size:           4
        .value_kind:     hidden_block_count_z
      - .offset:         108
        .size:           2
        .value_kind:     hidden_group_size_x
      - .offset:         110
        .size:           2
        .value_kind:     hidden_group_size_y
      - .offset:         112
        .size:           2
        .value_kind:     hidden_group_size_z
      - .offset:         114
        .size:           2
        .value_kind:     hidden_remainder_x
      - .offset:         116
        .size:           2
        .value_kind:     hidden_remainder_y
      - .offset:         118
        .size:           2
        .value_kind:     hidden_remainder_z
      - .offset:         136
        .size:           8
        .value_kind:     hidden_global_offset_x
      - .offset:         144
        .size:           8
        .value_kind:     hidden_global_offset_y
      - .offset:         152
        .size:           8
        .value_kind:     hidden_global_offset_z
      - .offset:         160
        .size:           2
        .value_kind:     hidden_grid_dims
      - .offset:         216
        .size:           4
        .value_kind:     hidden_dynamic_lds_size
    .group_segment_fixed_size: 8
    .kernarg_segment_align: 8
    .kernarg_segment_size: 352
    .language:       OpenCL C
    .language_version:
      - 2
      - 0
    .max_flat_workgroup_size: 1024
    .name:           _ZN9rocsolver6v33100L18getf2_panel_kernelIfiiPKPfEEvT0_S5_T2_lS5_lPS5_llPT1_S5_S5_S7_l
    .private_segment_fixed_size: 0
    .sgpr_count:     37
    .sgpr_spill_count: 0
    .symbol:         _ZN9rocsolver6v33100L18getf2_panel_kernelIfiiPKPfEEvT0_S5_T2_lS5_lPS5_llPT1_S5_S5_S7_l.kd
    .uniform_work_group_size: 1
    .uses_dynamic_stack: false
    .vgpr_count:     23
    .vgpr_spill_count: 0
    .wavefront_size: 32
  - .args:
      - .offset:         0
        .size:           4
        .value_kind:     by_value
      - .offset:         4
        .size:           4
        .value_kind:     by_value
      - .address_space:  global
        .offset:         8
        .size:           8
        .value_kind:     global_buffer
      - .offset:         16
        .size:           8
        .value_kind:     by_value
      - .offset:         24
        .size:           4
        .value_kind:     by_value
      - .offset:         32
        .size:           8
        .value_kind:     by_value
      - .address_space:  global
        .offset:         40
        .size:           8
        .value_kind:     global_buffer
      - .offset:         48
        .size:           4
        .value_kind:     by_value
      - .offset:         52
        .size:           4
        .value_kind:     by_value
      - .offset:         56
        .size:           4
        .value_kind:     hidden_block_count_x
      - .offset:         60
        .size:           4
        .value_kind:     hidden_block_count_y
      - .offset:         64
        .size:           4
        .value_kind:     hidden_block_count_z
      - .offset:         68
        .size:           2
        .value_kind:     hidden_group_size_x
      - .offset:         70
        .size:           2
        .value_kind:     hidden_group_size_y
      - .offset:         72
        .size:           2
        .value_kind:     hidden_group_size_z
      - .offset:         74
        .size:           2
        .value_kind:     hidden_remainder_x
      - .offset:         76
        .size:           2
        .value_kind:     hidden_remainder_y
      - .offset:         78
        .size:           2
        .value_kind:     hidden_remainder_z
      - .offset:         96
        .size:           8
        .value_kind:     hidden_global_offset_x
      - .offset:         104
        .size:           8
        .value_kind:     hidden_global_offset_y
      - .offset:         112
        .size:           8
        .value_kind:     hidden_global_offset_z
      - .offset:         120
        .size:           2
        .value_kind:     hidden_grid_dims
      - .offset:         176
        .size:           4
        .value_kind:     hidden_dynamic_lds_size
    .group_segment_fixed_size: 0
    .kernarg_segment_align: 8
    .kernarg_segment_size: 312
    .language:       OpenCL C
    .language_version:
      - 2
      - 0
    .max_flat_workgroup_size: 1024
    .name:           _ZN9rocsolver6v33100L23getf2_npvt_panel_kernelIfiiPKPfEEvT0_S5_T2_lS5_lPT1_S5_S5_
    .private_segment_fixed_size: 0
    .sgpr_count:     23
    .sgpr_spill_count: 0
    .symbol:         _ZN9rocsolver6v33100L23getf2_npvt_panel_kernelIfiiPKPfEEvT0_S5_T2_lS5_lPT1_S5_S5_.kd
    .uniform_work_group_size: 1
    .uses_dynamic_stack: false
    .vgpr_count:     15
    .vgpr_spill_count: 0
    .wavefront_size: 32
  - .args:
      - .offset:         0
        .size:           4
        .value_kind:     by_value
      - .offset:         4
        .size:           4
        .value_kind:     by_value
      - .address_space:  global
        .offset:         8
        .size:           8
        .value_kind:     global_buffer
      - .address_space:  global
        .offset:         16
        .size:           8
        .value_kind:     global_buffer
      - .offset:         24
        .size:           8
        .value_kind:     by_value
      - .offset:         32
        .size:           4
        .value_kind:     by_value
      - .offset:         40
        .size:           8
        .value_kind:     by_value
      - .offset:         48
        .size:           4
        .value_kind:     hidden_block_count_x
      - .offset:         52
        .size:           4
        .value_kind:     hidden_block_count_y
      - .offset:         56
        .size:           4
        .value_kind:     hidden_block_count_z
      - .offset:         60
        .size:           2
        .value_kind:     hidden_group_size_x
      - .offset:         62
        .size:           2
        .value_kind:     hidden_group_size_y
      - .offset:         64
        .size:           2
        .value_kind:     hidden_group_size_z
      - .offset:         66
        .size:           2
        .value_kind:     hidden_remainder_x
      - .offset:         68
        .size:           2
        .value_kind:     hidden_remainder_y
      - .offset:         70
        .size:           2
        .value_kind:     hidden_remainder_z
      - .offset:         88
        .size:           8
        .value_kind:     hidden_global_offset_x
      - .offset:         96
        .size:           8
        .value_kind:     hidden_global_offset_y
      - .offset:         104
        .size:           8
        .value_kind:     hidden_global_offset_z
      - .offset:         112
        .size:           2
        .value_kind:     hidden_grid_dims
      - .offset:         168
        .size:           4
        .value_kind:     hidden_dynamic_lds_size
    .group_segment_fixed_size: 0
    .kernarg_segment_align: 8
    .kernarg_segment_size: 304
    .language:       OpenCL C
    .language_version:
      - 2
      - 0
    .max_flat_workgroup_size: 1024
    .name:           _ZN9rocsolver6v33100L25getf2_scale_update_kernelIfiPfEEvT0_S3_PT_T1_lS3_l
    .private_segment_fixed_size: 0
    .sgpr_count:     20
    .sgpr_spill_count: 0
    .symbol:         _ZN9rocsolver6v33100L25getf2_scale_update_kernelIfiPfEEvT0_S3_PT_T1_lS3_l.kd
    .uniform_work_group_size: 1
    .uses_dynamic_stack: false
    .vgpr_count:     6
    .vgpr_spill_count: 0
    .wavefront_size: 32
  - .args:
      - .offset:         0
        .size:           4
        .value_kind:     by_value
      - .offset:         4
        .size:           4
        .value_kind:     by_value
      - .address_space:  global
        .offset:         8
        .size:           8
        .value_kind:     global_buffer
      - .address_space:  global
        .offset:         16
        .size:           8
        .value_kind:     global_buffer
      - .offset:         24
        .size:           8
        .value_kind:     by_value
      - .offset:         32
        .size:           4
        .value_kind:     by_value
      - .offset:         40
        .size:           8
        .value_kind:     by_value
      - .offset:         48
        .size:           4
        .value_kind:     hidden_block_count_x
      - .offset:         52
        .size:           4
        .value_kind:     hidden_block_count_y
      - .offset:         56
        .size:           4
        .value_kind:     hidden_block_count_z
      - .offset:         60
        .size:           2
        .value_kind:     hidden_group_size_x
      - .offset:         62
        .size:           2
        .value_kind:     hidden_group_size_y
      - .offset:         64
        .size:           2
        .value_kind:     hidden_group_size_z
      - .offset:         66
        .size:           2
        .value_kind:     hidden_remainder_x
      - .offset:         68
        .size:           2
        .value_kind:     hidden_remainder_y
      - .offset:         70
        .size:           2
        .value_kind:     hidden_remainder_z
      - .offset:         88
        .size:           8
        .value_kind:     hidden_global_offset_x
      - .offset:         96
        .size:           8
        .value_kind:     hidden_global_offset_y
      - .offset:         104
        .size:           8
        .value_kind:     hidden_global_offset_z
      - .offset:         112
        .size:           2
        .value_kind:     hidden_grid_dims
      - .offset:         168
        .size:           4
        .value_kind:     hidden_dynamic_lds_size
    .group_segment_fixed_size: 0
    .kernarg_segment_align: 8
    .kernarg_segment_size: 304
    .language:       OpenCL C
    .language_version:
      - 2
      - 0
    .max_flat_workgroup_size: 1024
    .name:           _ZN9rocsolver6v33100L25getf2_scale_update_kernelIfiPKPfEEvT0_S5_PT_T1_lS5_l
    .private_segment_fixed_size: 0
    .sgpr_count:     22
    .sgpr_spill_count: 0
    .symbol:         _ZN9rocsolver6v33100L25getf2_scale_update_kernelIfiPKPfEEvT0_S5_PT_T1_lS5_l.kd
    .uniform_work_group_size: 1
    .uses_dynamic_stack: false
    .vgpr_count:     7
    .vgpr_spill_count: 0
    .wavefront_size: 32
  - .args:
      - .offset:         0
        .size:           8
        .value_kind:     by_value
      - .offset:         8
        .size:           8
        .value_kind:     by_value
      - .address_space:  global
        .offset:         16
        .size:           8
        .value_kind:     global_buffer
      - .offset:         24
        .size:           8
        .value_kind:     by_value
      - .offset:         32
        .size:           8
        .value_kind:     by_value
      - .offset:         40
        .size:           8
        .value_kind:     by_value
      - .address_space:  global
        .offset:         48
        .size:           8
        .value_kind:     global_buffer
      - .offset:         56
        .size:           8
        .value_kind:     by_value
      - .offset:         64
        .size:           8
        .value_kind:     by_value
      - .address_space:  global
        .offset:         72
        .size:           8
        .value_kind:     global_buffer
      - .offset:         80
        .size:           8
        .value_kind:     by_value
      - .offset:         88
        .size:           8
        .value_kind:     by_value
      - .address_space:  global
        .offset:         96
        .size:           8
        .value_kind:     global_buffer
      - .offset:         104
        .size:           8
        .value_kind:     by_value
      - .offset:         112
        .size:           4
        .value_kind:     hidden_block_count_x
      - .offset:         116
        .size:           4
        .value_kind:     hidden_block_count_y
      - .offset:         120
        .size:           4
        .value_kind:     hidden_block_count_z
      - .offset:         124
        .size:           2
        .value_kind:     hidden_group_size_x
      - .offset:         126
        .size:           2
        .value_kind:     hidden_group_size_y
      - .offset:         128
        .size:           2
        .value_kind:     hidden_group_size_z
      - .offset:         130
        .size:           2
        .value_kind:     hidden_remainder_x
      - .offset:         132
        .size:           2
        .value_kind:     hidden_remainder_y
      - .offset:         134
        .size:           2
        .value_kind:     hidden_remainder_z
      - .offset:         152
        .size:           8
        .value_kind:     hidden_global_offset_x
      - .offset:         160
        .size:           8
        .value_kind:     hidden_global_offset_y
      - .offset:         168
        .size:           8
        .value_kind:     hidden_global_offset_z
      - .offset:         176
        .size:           2
        .value_kind:     hidden_grid_dims
      - .offset:         232
        .size:           4
        .value_kind:     hidden_dynamic_lds_size
    .group_segment_fixed_size: 8
    .kernarg_segment_align: 8
    .kernarg_segment_size: 368
    .language:       OpenCL C
    .language_version:
      - 2
      - 0
    .max_flat_workgroup_size: 1024
    .name:           _ZN9rocsolver6v33100L18getf2_panel_kernelIfllPfEEvT0_S3_T2_lS3_lPS3_llPT1_S3_S3_S5_l
    .private_segment_fixed_size: 0
    .sgpr_count:     52
    .sgpr_spill_count: 0
    .symbol:         _ZN9rocsolver6v33100L18getf2_panel_kernelIfllPfEEvT0_S3_T2_lS3_lPS3_llPT1_S3_S3_S5_l.kd
    .uniform_work_group_size: 1
    .uses_dynamic_stack: false
    .vgpr_count:     27
    .vgpr_spill_count: 0
    .wavefront_size: 32
  - .args:
      - .offset:         0
        .size:           8
        .value_kind:     by_value
      - .offset:         8
        .size:           8
        .value_kind:     by_value
      - .address_space:  global
        .offset:         16
        .size:           8
        .value_kind:     global_buffer
      - .offset:         24
        .size:           8
        .value_kind:     by_value
      - .offset:         32
        .size:           8
        .value_kind:     by_value
      - .offset:         40
        .size:           8
        .value_kind:     by_value
      - .address_space:  global
        .offset:         48
        .size:           8
        .value_kind:     global_buffer
      - .offset:         56
        .size:           8
        .value_kind:     by_value
      - .offset:         64
        .size:           8
        .value_kind:     by_value
      - .offset:         72
        .size:           4
        .value_kind:     hidden_block_count_x
      - .offset:         76
        .size:           4
        .value_kind:     hidden_block_count_y
      - .offset:         80
        .size:           4
        .value_kind:     hidden_block_count_z
      - .offset:         84
        .size:           2
        .value_kind:     hidden_group_size_x
      - .offset:         86
        .size:           2
        .value_kind:     hidden_group_size_y
      - .offset:         88
        .size:           2
        .value_kind:     hidden_group_size_z
      - .offset:         90
        .size:           2
        .value_kind:     hidden_remainder_x
      - .offset:         92
        .size:           2
        .value_kind:     hidden_remainder_y
      - .offset:         94
        .size:           2
        .value_kind:     hidden_remainder_z
      - .offset:         112
        .size:           8
        .value_kind:     hidden_global_offset_x
      - .offset:         120
        .size:           8
        .value_kind:     hidden_global_offset_y
      - .offset:         128
        .size:           8
        .value_kind:     hidden_global_offset_z
      - .offset:         136
        .size:           2
        .value_kind:     hidden_grid_dims
      - .offset:         192
        .size:           4
        .value_kind:     hidden_dynamic_lds_size
    .group_segment_fixed_size: 0
    .kernarg_segment_align: 8
    .kernarg_segment_size: 328
    .language:       OpenCL C
    .language_version:
      - 2
      - 0
    .max_flat_workgroup_size: 1024
    .name:           _ZN9rocsolver6v33100L23getf2_npvt_panel_kernelIfllPfEEvT0_S3_T2_lS3_lPT1_S3_S3_
    .private_segment_fixed_size: 0
    .sgpr_count:     38
    .sgpr_spill_count: 0
    .symbol:         _ZN9rocsolver6v33100L23getf2_npvt_panel_kernelIfllPfEEvT0_S3_T2_lS3_lPT1_S3_S3_.kd
    .uniform_work_group_size: 1
    .uses_dynamic_stack: false
    .vgpr_count:     21
    .vgpr_spill_count: 0
    .wavefront_size: 32
  - .args:
      - .offset:         0
        .size:           8
        .value_kind:     by_value
      - .offset:         8
        .size:           8
        .value_kind:     by_value
      - .address_space:  global
        .offset:         16
        .size:           8
        .value_kind:     global_buffer
      - .offset:         24
        .size:           8
        .value_kind:     by_value
      - .offset:         32
        .size:           8
        .value_kind:     by_value
      - .offset:         40
        .size:           8
        .value_kind:     by_value
      - .address_space:  global
        .offset:         48
        .size:           8
        .value_kind:     global_buffer
      - .offset:         56
        .size:           8
        .value_kind:     by_value
      - .offset:         64
        .size:           8
        .value_kind:     by_value
      - .address_space:  global
        .offset:         72
        .size:           8
        .value_kind:     global_buffer
      - .offset:         80
        .size:           8
        .value_kind:     by_value
      - .offset:         88
        .size:           8
        .value_kind:     by_value
      - .address_space:  global
        .offset:         96
        .size:           8
        .value_kind:     global_buffer
      - .offset:         104
        .size:           8
        .value_kind:     by_value
      - .offset:         112
        .size:           4
        .value_kind:     hidden_block_count_x
      - .offset:         116
        .size:           4
        .value_kind:     hidden_block_count_y
      - .offset:         120
        .size:           4
        .value_kind:     hidden_block_count_z
      - .offset:         124
        .size:           2
        .value_kind:     hidden_group_size_x
      - .offset:         126
        .size:           2
        .value_kind:     hidden_group_size_y
      - .offset:         128
        .size:           2
        .value_kind:     hidden_group_size_z
      - .offset:         130
        .size:           2
        .value_kind:     hidden_remainder_x
      - .offset:         132
        .size:           2
        .value_kind:     hidden_remainder_y
      - .offset:         134
        .size:           2
        .value_kind:     hidden_remainder_z
      - .offset:         152
        .size:           8
        .value_kind:     hidden_global_offset_x
      - .offset:         160
        .size:           8
        .value_kind:     hidden_global_offset_y
      - .offset:         168
        .size:           8
        .value_kind:     hidden_global_offset_z
      - .offset:         176
        .size:           2
        .value_kind:     hidden_grid_dims
      - .offset:         232
        .size:           4
        .value_kind:     hidden_dynamic_lds_size
    .group_segment_fixed_size: 8
    .kernarg_segment_align: 8
    .kernarg_segment_size: 368
    .language:       OpenCL C
    .language_version:
      - 2
      - 0
    .max_flat_workgroup_size: 1024
    .name:           _ZN9rocsolver6v33100L18getf2_panel_kernelIfllPKPfEEvT0_S5_T2_lS5_lPS5_llPT1_S5_S5_S7_l
    .private_segment_fixed_size: 0
    .sgpr_count:     52
    .sgpr_spill_count: 0
    .symbol:         _ZN9rocsolver6v33100L18getf2_panel_kernelIfllPKPfEEvT0_S5_T2_lS5_lPS5_llPT1_S5_S5_S7_l.kd
    .uniform_work_group_size: 1
    .uses_dynamic_stack: false
    .vgpr_count:     27
    .vgpr_spill_count: 0
    .wavefront_size: 32
  - .args:
      - .offset:         0
        .size:           8
        .value_kind:     by_value
      - .offset:         8
        .size:           8
        .value_kind:     by_value
      - .address_space:  global
        .offset:         16
        .size:           8
        .value_kind:     global_buffer
      - .offset:         24
        .size:           8
        .value_kind:     by_value
      - .offset:         32
        .size:           8
        .value_kind:     by_value
      - .offset:         40
        .size:           8
        .value_kind:     by_value
      - .address_space:  global
        .offset:         48
        .size:           8
        .value_kind:     global_buffer
      - .offset:         56
        .size:           8
        .value_kind:     by_value
      - .offset:         64
        .size:           8
        .value_kind:     by_value
      - .offset:         72
        .size:           4
        .value_kind:     hidden_block_count_x
      - .offset:         76
        .size:           4
        .value_kind:     hidden_block_count_y
      - .offset:         80
        .size:           4
        .value_kind:     hidden_block_count_z
      - .offset:         84
        .size:           2
        .value_kind:     hidden_group_size_x
      - .offset:         86
        .size:           2
        .value_kind:     hidden_group_size_y
      - .offset:         88
        .size:           2
        .value_kind:     hidden_group_size_z
      - .offset:         90
        .size:           2
        .value_kind:     hidden_remainder_x
      - .offset:         92
        .size:           2
        .value_kind:     hidden_remainder_y
      - .offset:         94
        .size:           2
        .value_kind:     hidden_remainder_z
      - .offset:         112
        .size:           8
        .value_kind:     hidden_global_offset_x
      - .offset:         120
        .size:           8
        .value_kind:     hidden_global_offset_y
      - .offset:         128
        .size:           8
        .value_kind:     hidden_global_offset_z
      - .offset:         136
        .size:           2
        .value_kind:     hidden_grid_dims
      - .offset:         192
        .size:           4
        .value_kind:     hidden_dynamic_lds_size
    .group_segment_fixed_size: 0
    .kernarg_segment_align: 8
    .kernarg_segment_size: 328
    .language:       OpenCL C
    .language_version:
      - 2
      - 0
    .max_flat_workgroup_size: 1024
    .name:           _ZN9rocsolver6v33100L23getf2_npvt_panel_kernelIfllPKPfEEvT0_S5_T2_lS5_lPT1_S5_S5_
    .private_segment_fixed_size: 0
    .sgpr_count:     34
    .sgpr_spill_count: 0
    .symbol:         _ZN9rocsolver6v33100L23getf2_npvt_panel_kernelIfllPKPfEEvT0_S5_T2_lS5_lPT1_S5_S5_.kd
    .uniform_work_group_size: 1
    .uses_dynamic_stack: false
    .vgpr_count:     21
    .vgpr_spill_count: 0
    .wavefront_size: 32
  - .args:
      - .offset:         0
        .size:           8
        .value_kind:     by_value
      - .offset:         8
        .size:           8
        .value_kind:     by_value
      - .address_space:  global
        .offset:         16
        .size:           8
        .value_kind:     global_buffer
      - .address_space:  global
        .offset:         24
        .size:           8
        .value_kind:     global_buffer
      - .offset:         32
        .size:           8
        .value_kind:     by_value
      - .offset:         40
        .size:           8
        .value_kind:     by_value
      - .offset:         48
        .size:           8
        .value_kind:     by_value
      - .offset:         56
        .size:           4
        .value_kind:     hidden_block_count_x
      - .offset:         60
        .size:           4
        .value_kind:     hidden_block_count_y
      - .offset:         64
        .size:           4
        .value_kind:     hidden_block_count_z
      - .offset:         68
        .size:           2
        .value_kind:     hidden_group_size_x
      - .offset:         70
        .size:           2
        .value_kind:     hidden_group_size_y
      - .offset:         72
        .size:           2
        .value_kind:     hidden_group_size_z
      - .offset:         74
        .size:           2
        .value_kind:     hidden_remainder_x
      - .offset:         76
        .size:           2
        .value_kind:     hidden_remainder_y
      - .offset:         78
        .size:           2
        .value_kind:     hidden_remainder_z
      - .offset:         96
        .size:           8
        .value_kind:     hidden_global_offset_x
      - .offset:         104
        .size:           8
        .value_kind:     hidden_global_offset_y
      - .offset:         112
        .size:           8
        .value_kind:     hidden_global_offset_z
      - .offset:         120
        .size:           2
        .value_kind:     hidden_grid_dims
      - .offset:         176
        .size:           4
        .value_kind:     hidden_dynamic_lds_size
    .group_segment_fixed_size: 0
    .kernarg_segment_align: 8
    .kernarg_segment_size: 312
    .language:       OpenCL C
    .language_version:
      - 2
      - 0
    .max_flat_workgroup_size: 1024
    .name:           _ZN9rocsolver6v33100L25getf2_scale_update_kernelIflPfEEvT0_S3_PT_T1_lS3_l
    .private_segment_fixed_size: 0
    .sgpr_count:     26
    .sgpr_spill_count: 0
    .symbol:         _ZN9rocsolver6v33100L25getf2_scale_update_kernelIflPfEEvT0_S3_PT_T1_lS3_l.kd
    .uniform_work_group_size: 1
    .uses_dynamic_stack: false
    .vgpr_count:     10
    .vgpr_spill_count: 0
    .wavefront_size: 32
  - .args:
      - .offset:         0
        .size:           8
        .value_kind:     by_value
      - .offset:         8
        .size:           8
        .value_kind:     by_value
      - .address_space:  global
        .offset:         16
        .size:           8
        .value_kind:     global_buffer
      - .address_space:  global
        .offset:         24
        .size:           8
        .value_kind:     global_buffer
      - .offset:         32
        .size:           8
        .value_kind:     by_value
      - .offset:         40
        .size:           8
        .value_kind:     by_value
      - .offset:         48
        .size:           8
        .value_kind:     by_value
      - .offset:         56
        .size:           4
        .value_kind:     hidden_block_count_x
      - .offset:         60
        .size:           4
        .value_kind:     hidden_block_count_y
      - .offset:         64
        .size:           4
        .value_kind:     hidden_block_count_z
      - .offset:         68
        .size:           2
        .value_kind:     hidden_group_size_x
      - .offset:         70
        .size:           2
        .value_kind:     hidden_group_size_y
      - .offset:         72
        .size:           2
        .value_kind:     hidden_group_size_z
      - .offset:         74
        .size:           2
        .value_kind:     hidden_remainder_x
      - .offset:         76
        .size:           2
        .value_kind:     hidden_remainder_y
      - .offset:         78
        .size:           2
        .value_kind:     hidden_remainder_z
      - .offset:         96
        .size:           8
        .value_kind:     hidden_global_offset_x
      - .offset:         104
        .size:           8
        .value_kind:     hidden_global_offset_y
      - .offset:         112
        .size:           8
        .value_kind:     hidden_global_offset_z
      - .offset:         120
        .size:           2
        .value_kind:     hidden_grid_dims
      - .offset:         176
        .size:           4
        .value_kind:     hidden_dynamic_lds_size
    .group_segment_fixed_size: 0
    .kernarg_segment_align: 8
    .kernarg_segment_size: 312
    .language:       OpenCL C
    .language_version:
      - 2
      - 0
    .max_flat_workgroup_size: 1024
    .name:           _ZN9rocsolver6v33100L25getf2_scale_update_kernelIflPKPfEEvT0_S5_PT_T1_lS5_l
    .private_segment_fixed_size: 0
    .sgpr_count:     24
    .sgpr_spill_count: 0
    .symbol:         _ZN9rocsolver6v33100L25getf2_scale_update_kernelIflPKPfEEvT0_S5_PT_T1_lS5_l.kd
    .uniform_work_group_size: 1
    .uses_dynamic_stack: false
    .vgpr_count:     9
    .vgpr_spill_count: 0
    .wavefront_size: 32
amdhsa.target:   amdgcn-amd-amdhsa--gfx1250
amdhsa.version:
  - 1
  - 2
...

	.end_amdgpu_metadata
